;; amdgpu-corpus repo=ROCm/rocFFT kind=compiled arch=gfx1201 opt=O3
	.text
	.amdgcn_target "amdgcn-amd-amdhsa--gfx1201"
	.amdhsa_code_object_version 6
	.protected	bluestein_single_back_len945_dim1_dp_op_CI_CI ; -- Begin function bluestein_single_back_len945_dim1_dp_op_CI_CI
	.globl	bluestein_single_back_len945_dim1_dp_op_CI_CI
	.p2align	8
	.type	bluestein_single_back_len945_dim1_dp_op_CI_CI,@function
bluestein_single_back_len945_dim1_dp_op_CI_CI: ; @bluestein_single_back_len945_dim1_dp_op_CI_CI
; %bb.0:
	s_load_b128 s[16:19], s[0:1], 0x28
	v_mul_u32_u24_e32 v1, 0x411, v0
	s_mov_b32 s2, exec_lo
	v_mov_b32_e32 v5, 0
	s_delay_alu instid0(VALU_DEP_2) | instskip(NEXT) | instid1(VALU_DEP_1)
	v_lshrrev_b32_e32 v1, 16, v1
	v_add_nc_u32_e32 v4, ttmp9, v1
	s_wait_kmcnt 0x0
	s_delay_alu instid0(VALU_DEP_1)
	v_cmpx_gt_u64_e64 s[16:17], v[4:5]
	s_cbranch_execz .LBB0_10
; %bb.1:
	s_clause 0x1
	s_load_b128 s[4:7], s[0:1], 0x18
	s_load_b128 s[8:11], s[0:1], 0x0
	v_mul_lo_u16 v1, v1, 63
	s_mov_b32 s16, 0x134454ff
	s_mov_b32 s17, 0x3fee6f0e
                                        ; implicit-def: $vgpr112_vgpr113
                                        ; implicit-def: $vgpr120_vgpr121
                                        ; implicit-def: $vgpr128_vgpr129
                                        ; implicit-def: $vgpr136_vgpr137
	v_mov_b32_e32 v5, v4
	s_delay_alu instid0(VALU_DEP_2) | instskip(SKIP_2) | instid1(VALU_DEP_1)
	v_sub_nc_u16 v8, v0, v1
	scratch_store_b64 off, v[5:6], off      ; 8-byte Folded Spill
	v_and_b32_e32 v96, 0xffff, v8
	v_lshlrev_b32_e32 v140, 4, v96
	s_wait_kmcnt 0x0
	s_load_b128 s[12:15], s[4:5], 0x0
	s_movk_i32 s4, 0xdc90
	s_mov_b32 s5, -1
	global_load_b128 v[33:36], v140, s[8:9]
	s_wait_kmcnt 0x0
	v_mad_co_u64_u32 v[0:1], null, s14, v4, 0
	v_mad_co_u64_u32 v[2:3], null, s12, v96, 0
	s_mul_u64 s[2:3], s[12:13], 0x13b0
	s_mul_u64 s[4:5], s[12:13], s[4:5]
	s_delay_alu instid0(VALU_DEP_1) | instskip(SKIP_1) | instid1(VALU_DEP_1)
	v_mad_co_u64_u32 v[4:5], null, s15, v4, v[1:2]
	s_mov_b32 s15, 0xbfee6f0e
	v_mad_co_u64_u32 v[5:6], null, s13, v96, v[3:4]
	v_mov_b32_e32 v1, v4
	s_mov_b32 s13, 0xbfebb67a
	s_delay_alu instid0(VALU_DEP_1) | instskip(NEXT) | instid1(VALU_DEP_3)
	v_lshlrev_b64_e32 v[0:1], 4, v[0:1]
	v_mov_b32_e32 v3, v5
	s_delay_alu instid0(VALU_DEP_2) | instskip(NEXT) | instid1(VALU_DEP_2)
	v_add_co_u32 v0, vcc_lo, s18, v0
	v_lshlrev_b64_e32 v[2:3], 4, v[2:3]
	s_delay_alu instid0(VALU_DEP_4) | instskip(SKIP_2) | instid1(VALU_DEP_2)
	v_add_co_ci_u32_e32 v1, vcc_lo, s19, v1, vcc_lo
	s_mov_b32 s18, 0x372fe950
	s_mov_b32 s19, 0x3fd3c6ef
	v_add_co_u32 v0, vcc_lo, v0, v2
	s_wait_alu 0xfffd
	v_add_co_ci_u32_e32 v1, vcc_lo, v1, v3, vcc_lo
	s_delay_alu instid0(VALU_DEP_2) | instskip(SKIP_1) | instid1(VALU_DEP_2)
	v_add_co_u32 v9, vcc_lo, v0, s2
	s_wait_alu 0xfffd
	v_add_co_ci_u32_e32 v10, vcc_lo, s3, v1, vcc_lo
	global_load_b128 v[0:3], v[0:1], off
	global_load_b128 v[37:40], v140, s[8:9] offset:5040
	global_load_b128 v[4:7], v[9:10], off
	v_add_co_u32 v9, vcc_lo, v9, s2
	s_wait_alu 0xfffd
	v_add_co_ci_u32_e32 v10, vcc_lo, s3, v10, vcc_lo
	global_load_b128 v[45:48], v140, s[8:9] offset:10080
	v_add_co_u32 v17, vcc_lo, v9, s4
	s_wait_alu 0xfffd
	v_add_co_ci_u32_e32 v18, vcc_lo, s5, v10, vcc_lo
	global_load_b128 v[9:12], v[9:10], off
	global_load_b128 v[49:52], v140, s[8:9] offset:1008
	global_load_b128 v[13:16], v[17:18], off
	v_add_co_u32 v21, vcc_lo, v17, s2
	s_wait_alu 0xfffd
	v_add_co_ci_u32_e32 v22, vcc_lo, s3, v18, vcc_lo
	global_load_b128 v[41:44], v140, s[8:9] offset:6048
	global_load_b128 v[17:20], v[21:22], off
	s_clause 0x1
	global_load_b128 v[53:56], v140, s[8:9] offset:11088
	global_load_b128 v[59:62], v140, s[8:9] offset:4032
	s_wait_loadcnt 0xb
	scratch_store_b128 off, v[33:36], off offset:12 ; 16-byte Folded Spill
	s_wait_loadcnt 0xa
	v_mul_f64_e32 v[23:24], v[2:3], v[35:36]
	s_wait_loadcnt 0x9
	scratch_store_b128 off, v[37:40], off offset:28 ; 16-byte Folded Spill
	s_wait_loadcnt 0x8
	v_mul_f64_e32 v[27:28], v[6:7], v[39:40]
	v_mul_f64_e32 v[25:26], v[0:1], v[35:36]
	;; [unrolled: 1-line block ×3, first 2 shown]
	s_wait_loadcnt 0x7
	scratch_store_b128 off, v[45:48], off offset:60 ; 16-byte Folded Spill
	s_wait_loadcnt 0x6
	v_mul_f64_e32 v[31:32], v[11:12], v[47:48]
	s_wait_loadcnt 0x5
	scratch_store_b128 off, v[49:52], off offset:76 ; 16-byte Folded Spill
	s_wait_loadcnt 0x3
	scratch_store_b128 off, v[41:44], off offset:44 ; 16-byte Folded Spill
	;; [unrolled: 2-line block ×3, first 2 shown]
	v_fma_f64 v[0:1], v[0:1], v[33:34], v[23:24]
	v_mul_f64_e32 v[23:24], v[9:10], v[47:48]
	v_fma_f64 v[4:5], v[4:5], v[37:38], v[27:28]
	v_mul_f64_e32 v[27:28], v[13:14], v[51:52]
	v_fma_f64 v[2:3], v[2:3], v[33:34], -v[25:26]
	v_mul_f64_e32 v[25:26], v[15:16], v[51:52]
	v_fma_f64 v[6:7], v[6:7], v[37:38], -v[29:30]
	v_fma_f64 v[9:10], v[9:10], v[45:46], v[31:32]
	v_fma_f64 v[11:12], v[11:12], v[45:46], -v[23:24]
	v_mul_f64_e32 v[23:24], v[19:20], v[43:44]
	v_fma_f64 v[15:16], v[15:16], v[49:50], -v[27:28]
	v_add_co_u32 v27, vcc_lo, v21, s2
	s_wait_alu 0xfffd
	v_add_co_ci_u32_e32 v28, vcc_lo, s3, v22, vcc_lo
	v_fma_f64 v[13:14], v[13:14], v[49:50], v[25:26]
	v_mul_f64_e32 v[25:26], v[17:18], v[43:44]
	global_load_b128 v[45:48], v140, s[8:9] offset:7056
	v_fma_f64 v[17:18], v[17:18], v[41:42], v[23:24]
	global_load_b128 v[21:24], v[27:28], off
	v_fma_f64 v[19:20], v[19:20], v[41:42], -v[25:26]
	s_wait_loadcnt 0x0
	v_mul_f64_e32 v[29:30], v[21:22], v[55:56]
	v_mul_f64_e32 v[25:26], v[23:24], v[55:56]
	s_delay_alu instid0(VALU_DEP_2) | instskip(SKIP_3) | instid1(VALU_DEP_4)
	v_fma_f64 v[23:24], v[23:24], v[53:54], -v[29:30]
	v_add_co_u32 v29, vcc_lo, v27, s4
	s_wait_alu 0xfffd
	v_add_co_ci_u32_e32 v30, vcc_lo, s5, v28, vcc_lo
	v_fma_f64 v[21:22], v[21:22], v[53:54], v[25:26]
	global_load_b128 v[25:28], v[29:30], off
	s_clause 0x1
	global_load_b128 v[35:38], v140, s[8:9] offset:2016
	global_load_b128 v[49:52], v140, s[8:9] offset:3024
	scratch_store_b128 off, v[45:48], off offset:124 ; 16-byte Folded Spill
	s_wait_loadcnt 0x1
	v_mul_f64_e32 v[33:34], v[25:26], v[37:38]
	v_mul_f64_e32 v[31:32], v[27:28], v[37:38]
	scratch_store_b128 off, v[35:38], off offset:156 ; 16-byte Folded Spill
	v_fma_f64 v[27:28], v[27:28], v[35:36], -v[33:34]
	v_add_co_u32 v33, vcc_lo, v29, s2
	s_wait_alu 0xfffd
	v_add_co_ci_u32_e32 v34, vcc_lo, s3, v30, vcc_lo
	v_fma_f64 v[25:26], v[25:26], v[35:36], v[31:32]
	global_load_b128 v[29:32], v[33:34], off
	s_wait_loadcnt 0x0
	v_mul_f64_e32 v[37:38], v[29:30], v[47:48]
	v_mul_f64_e32 v[35:36], v[31:32], v[47:48]
	s_delay_alu instid0(VALU_DEP_2) | instskip(SKIP_3) | instid1(VALU_DEP_4)
	v_fma_f64 v[31:32], v[31:32], v[45:46], -v[37:38]
	v_add_co_u32 v37, vcc_lo, v33, s2
	s_wait_alu 0xfffd
	v_add_co_ci_u32_e32 v38, vcc_lo, s3, v34, vcc_lo
	v_fma_f64 v[29:30], v[29:30], v[45:46], v[35:36]
	global_load_b128 v[33:36], v[37:38], off
	s_clause 0x1
	global_load_b128 v[43:46], v140, s[8:9] offset:12096
	global_load_b128 v[55:58], v140, s[8:9] offset:13104
	scratch_store_b128 off, v[49:52], off offset:140 ; 16-byte Folded Spill
	s_wait_loadcnt 0x1
	v_mul_f64_e32 v[41:42], v[33:34], v[45:46]
	v_mul_f64_e32 v[39:40], v[35:36], v[45:46]
	scratch_store_b128 off, v[43:46], off offset:188 ; 16-byte Folded Spill
	v_fma_f64 v[35:36], v[35:36], v[43:44], -v[41:42]
	v_add_co_u32 v41, vcc_lo, v37, s4
	s_wait_alu 0xfffd
	v_add_co_ci_u32_e32 v42, vcc_lo, s5, v38, vcc_lo
	v_fma_f64 v[33:34], v[33:34], v[43:44], v[39:40]
	global_load_b128 v[37:40], v[41:42], off
	s_wait_loadcnt 0x0
	v_mul_f64_e32 v[45:46], v[37:38], v[51:52]
	v_mul_f64_e32 v[43:44], v[39:40], v[51:52]
	s_delay_alu instid0(VALU_DEP_2) | instskip(SKIP_3) | instid1(VALU_DEP_4)
	v_fma_f64 v[39:40], v[39:40], v[49:50], -v[45:46]
	v_add_co_u32 v45, vcc_lo, v41, s2
	s_wait_alu 0xfffd
	v_add_co_ci_u32_e32 v46, vcc_lo, s3, v42, vcc_lo
	v_fma_f64 v[37:38], v[37:38], v[49:50], v[43:44]
	global_load_b128 v[41:44], v[45:46], off
	s_clause 0x1
	global_load_b128 v[51:54], v140, s[8:9] offset:8064
	global_load_b128 v[63:66], v140, s[8:9] offset:9072
	s_clause 0x1
	scratch_store_b128 off, v[55:58], off offset:172
	scratch_store_b128 off, v[59:62], off offset:92
	s_wait_loadcnt 0x1
	v_mul_f64_e32 v[49:50], v[41:42], v[53:54]
	v_mul_f64_e32 v[47:48], v[43:44], v[53:54]
	scratch_store_b128 off, v[51:54], off offset:204 ; 16-byte Folded Spill
	s_wait_loadcnt 0x0
	scratch_store_b128 off, v[63:66], off offset:220 ; 16-byte Folded Spill
	v_fma_f64 v[43:44], v[43:44], v[51:52], -v[49:50]
	v_add_co_u32 v49, vcc_lo, v45, s2
	s_wait_alu 0xfffd
	v_add_co_ci_u32_e32 v50, vcc_lo, s3, v46, vcc_lo
	v_fma_f64 v[41:42], v[41:42], v[51:52], v[47:48]
	global_load_b128 v[45:48], v[49:50], off
	s_wait_loadcnt 0x0
	v_mul_f64_e32 v[53:54], v[45:46], v[57:58]
	v_mul_f64_e32 v[51:52], v[47:48], v[57:58]
	s_delay_alu instid0(VALU_DEP_2) | instskip(SKIP_3) | instid1(VALU_DEP_4)
	v_fma_f64 v[47:48], v[47:48], v[55:56], -v[53:54]
	v_add_co_u32 v53, vcc_lo, v49, s4
	s_wait_alu 0xfffd
	v_add_co_ci_u32_e32 v54, vcc_lo, s5, v50, vcc_lo
	v_fma_f64 v[45:46], v[45:46], v[55:56], v[51:52]
	global_load_b128 v[49:52], v[53:54], off
	s_wait_loadcnt 0x0
	v_mul_f64_e32 v[57:58], v[49:50], v[61:62]
	v_mul_f64_e32 v[55:56], v[51:52], v[61:62]
	s_delay_alu instid0(VALU_DEP_2) | instskip(SKIP_3) | instid1(VALU_DEP_4)
	v_fma_f64 v[51:52], v[51:52], v[59:60], -v[57:58]
	v_add_co_u32 v57, vcc_lo, v53, s2
	s_wait_alu 0xfffd
	v_add_co_ci_u32_e32 v58, vcc_lo, s3, v54, vcc_lo
	v_fma_f64 v[49:50], v[49:50], v[59:60], v[55:56]
	global_load_b128 v[53:56], v[57:58], off
	v_add_co_u32 v57, vcc_lo, v57, s2
	s_wait_alu 0xfffd
	v_add_co_ci_u32_e32 v58, vcc_lo, s3, v58, vcc_lo
	s_mov_b32 s2, 0xe8584caa
	s_mov_b32 s3, 0x3febb67a
	s_wait_alu 0xfffe
	s_mov_b32 s12, s2
	v_cmp_gt_u16_e32 vcc_lo, 9, v8
	s_wait_loadcnt 0x0
	v_mul_f64_e32 v[59:60], v[55:56], v[65:66]
	v_mul_f64_e32 v[61:62], v[53:54], v[65:66]
	s_delay_alu instid0(VALU_DEP_2)
	v_fma_f64 v[53:54], v[53:54], v[63:64], v[59:60]
	global_load_b128 v[57:60], v[57:58], off
	global_load_b128 v[65:68], v140, s[8:9] offset:14112
	v_fma_f64 v[55:56], v[55:56], v[63:64], -v[61:62]
	s_wait_loadcnt 0x0
	v_mul_f64_e32 v[61:62], v[59:60], v[67:68]
	v_mul_f64_e32 v[63:64], v[57:58], v[67:68]
	scratch_store_b128 off, v[65:68], off offset:236 ; 16-byte Folded Spill
	v_fma_f64 v[57:58], v[57:58], v[65:66], v[61:62]
	v_fma_f64 v[59:60], v[59:60], v[65:66], -v[63:64]
	ds_store_b128 v140, v[0:3]
	ds_store_b128 v140, v[13:16] offset:1008
	ds_store_b128 v140, v[9:12] offset:10080
	;; [unrolled: 1-line block ×14, first 2 shown]
	s_load_b128 s[4:7], s[6:7], 0x0
	global_wb scope:SCOPE_SE
	s_wait_storecnt_dscnt 0x0
	s_wait_kmcnt 0x0
	s_barrier_signal -1
	s_barrier_wait -1
	global_inv scope:SCOPE_SE
	ds_load_b128 v[0:3], v140 offset:5040
	ds_load_b128 v[4:7], v140
	ds_load_b128 v[9:12], v140 offset:1008
	ds_load_b128 v[13:16], v140 offset:4032
	;; [unrolled: 1-line block ×4, first 2 shown]
	s_wait_dscnt 0x4
	v_add_f64_e32 v[25:26], v[4:5], v[0:1]
	v_add_f64_e32 v[27:28], v[6:7], v[2:3]
	s_wait_dscnt 0x1
	v_add_f64_e32 v[45:46], v[0:1], v[17:18]
	v_add_f64_e32 v[47:48], v[2:3], v[19:20]
	v_add_f64_e64 v[49:50], v[2:3], -v[19:20]
	v_add_f64_e64 v[51:52], v[0:1], -v[17:18]
	v_add_f64_e32 v[0:1], v[25:26], v[17:18]
	v_add_f64_e32 v[2:3], v[27:28], v[19:20]
	ds_load_b128 v[17:20], v140 offset:6048
	ds_load_b128 v[25:28], v140 offset:7056
	s_wait_dscnt 0x1
	v_add_f64_e32 v[29:30], v[9:10], v[17:18]
	v_add_f64_e32 v[31:32], v[11:12], v[19:20]
	;; [unrolled: 1-line block ×4, first 2 shown]
	v_add_f64_e64 v[57:58], v[19:20], -v[23:24]
	v_add_f64_e64 v[59:60], v[17:18], -v[21:22]
	v_add_f64_e32 v[17:18], v[29:30], v[21:22]
	v_add_f64_e32 v[19:20], v[31:32], v[23:24]
	ds_load_b128 v[21:24], v140 offset:2016
	ds_load_b128 v[29:32], v140 offset:3024
	;; [unrolled: 1-line block ×4, first 2 shown]
	s_wait_dscnt 0x3
	v_add_f64_e32 v[41:42], v[21:22], v[25:26]
	v_add_f64_e32 v[43:44], v[23:24], v[27:28]
	s_wait_dscnt 0x1
	v_add_f64_e32 v[61:62], v[25:26], v[33:34]
	v_add_f64_e32 v[63:64], v[27:28], v[35:36]
	v_add_f64_e64 v[65:66], v[27:28], -v[35:36]
	v_add_f64_e64 v[67:68], v[25:26], -v[33:34]
	v_add_f64_e32 v[33:34], v[41:42], v[33:34]
	v_add_f64_e32 v[35:36], v[43:44], v[35:36]
	ds_load_b128 v[25:28], v140 offset:8064
	ds_load_b128 v[41:44], v140 offset:9072
	s_wait_dscnt 0x1
	v_add_f64_e32 v[69:70], v[29:30], v[25:26]
	v_add_f64_e32 v[71:72], v[31:32], v[27:28]
	;; [unrolled: 1-line block ×4, first 2 shown]
	v_add_f64_e64 v[77:78], v[27:28], -v[39:40]
	v_add_f64_e64 v[79:80], v[25:26], -v[37:38]
	ds_load_b128 v[25:28], v140 offset:14112
	global_wb scope:SCOPE_SE
	s_wait_dscnt 0x0
	s_barrier_signal -1
	s_barrier_wait -1
	global_inv scope:SCOPE_SE
	v_add_f64_e32 v[81:82], v[41:42], v[25:26]
	v_add_f64_e32 v[83:84], v[43:44], v[27:28]
	v_add_f64_e64 v[85:86], v[43:44], -v[27:28]
	v_add_f64_e64 v[87:88], v[41:42], -v[25:26]
	v_add_f64_e32 v[37:38], v[69:70], v[37:38]
	v_add_f64_e32 v[39:40], v[71:72], v[39:40]
	v_add_f64_e32 v[69:70], v[13:14], v[41:42]
	v_add_f64_e32 v[71:72], v[15:16], v[43:44]
	s_delay_alu instid0(VALU_DEP_2) | instskip(NEXT) | instid1(VALU_DEP_2)
	v_add_f64_e32 v[41:42], v[69:70], v[25:26]
	v_add_f64_e32 v[43:44], v[71:72], v[27:28]
	v_fma_f64 v[25:26], v[45:46], -0.5, v[4:5]
	v_fma_f64 v[27:28], v[47:48], -0.5, v[6:7]
	;; [unrolled: 1-line block ×10, first 2 shown]
	v_fma_f64 v[4:5], v[49:50], s[2:3], v[25:26]
	v_fma_f64 v[6:7], v[51:52], s[12:13], v[27:28]
	;; [unrolled: 1-line block ×8, first 2 shown]
	v_mul_lo_u16 v25, v8, 3
	v_fma_f64 v[45:46], v[65:66], s[12:13], v[53:54]
	v_fma_f64 v[47:48], v[67:68], s[2:3], v[55:56]
	;; [unrolled: 1-line block ×4, first 2 shown]
	v_and_b32_e32 v25, 0xffff, v25
	v_fma_f64 v[53:54], v[77:78], s[12:13], v[61:62]
	v_fma_f64 v[55:56], v[79:80], s[2:3], v[63:64]
	;; [unrolled: 1-line block ×4, first 2 shown]
	v_lshlrev_b32_e32 v25, 4, v25
	ds_store_b128 v25, v[0:3]
	ds_store_b128 v25, v[4:7] offset:16
	v_add_co_u32 v4, null, v96, 63
	v_fma_f64 v[61:62], v[85:86], s[12:13], v[69:70]
	v_fma_f64 v[63:64], v[87:88], s[2:3], v[71:72]
	;; [unrolled: 1-line block ×3, first 2 shown]
	s_delay_alu instid0(VALU_DEP_4)
	v_mul_u32_u24_e32 v0, 3, v4
	v_fma_f64 v[59:60], v[87:88], s[12:13], v[71:72]
	v_add_co_u32 v28, null, 0x7e, v96
	scratch_store_b32 off, v25, off offset:360 ; 4-byte Folded Spill
	v_lshlrev_b32_e32 v0, 4, v0
	ds_store_b128 v25, v[9:12] offset:32
	ds_store_b128 v0, v[17:20]
	ds_store_b128 v0, v[13:16] offset:16
	scratch_store_b32 off, v0, off offset:364 ; 4-byte Folded Spill
	ds_store_b128 v0, v[21:24] offset:32
	v_mul_u32_u24_e32 v0, 3, v28
	v_add_co_u32 v10, null, 0xbd, v96
	v_add_co_u32 v9, null, 0xfc, v96
	s_delay_alu instid0(VALU_DEP_3)
	v_lshlrev_b32_e32 v0, 4, v0
	ds_store_b128 v0, v[33:36]
	ds_store_b128 v0, v[29:32] offset:16
	scratch_store_b32 off, v0, off offset:356 ; 4-byte Folded Spill
	ds_store_b128 v0, v[45:48] offset:32
	v_mul_u32_u24_e32 v0, 3, v10
	v_and_b32_e32 v5, 0xff, v8
	s_delay_alu instid0(VALU_DEP_2)
	v_lshlrev_b32_e32 v0, 4, v0
	ds_store_b128 v0, v[37:40]
	ds_store_b128 v0, v[49:52] offset:16
	scratch_store_b32 off, v0, off offset:336 ; 4-byte Folded Spill
	ds_store_b128 v0, v[53:56] offset:32
	v_mul_u32_u24_e32 v0, 3, v9
	s_delay_alu instid0(VALU_DEP_1)
	v_lshlrev_b32_e32 v0, 4, v0
	ds_store_b128 v0, v[41:44]
	ds_store_b128 v0, v[57:60] offset:16
	scratch_store_b32 off, v0, off offset:332 ; 4-byte Folded Spill
	ds_store_b128 v0, v[61:64] offset:32
	v_mul_lo_u16 v0, 0xab, v5
	global_wb scope:SCOPE_SE
	s_wait_storecnt_dscnt 0x0
	s_barrier_signal -1
	s_barrier_wait -1
	global_inv scope:SCOPE_SE
	v_lshrrev_b16 v12, 9, v0
	s_delay_alu instid0(VALU_DEP_1) | instskip(SKIP_1) | instid1(VALU_DEP_2)
	v_mul_lo_u16 v0, v12, 3
	v_and_b32_e32 v12, 0xffff, v12
	v_sub_nc_u16 v0, v8, v0
	s_delay_alu instid0(VALU_DEP_2) | instskip(NEXT) | instid1(VALU_DEP_2)
	v_mul_u32_u24_e32 v12, 9, v12
	v_and_b32_e32 v11, 0xff, v0
	s_delay_alu instid0(VALU_DEP_1)
	v_lshlrev_b32_e32 v0, 5, v11
	s_clause 0x1
	global_load_b128 v[19:22], v0, s[10:11]
	global_load_b128 v[23:26], v0, s[10:11] offset:16
	ds_load_b128 v[0:3], v140 offset:5040
	ds_load_b128 v[15:18], v140 offset:4032
	v_add_lshl_u32 v11, v12, v11, 4
	s_wait_loadcnt_dscnt 0x101
	v_mul_f64_e32 v[6:7], v[2:3], v[21:22]
	scratch_store_b128 off, v[19:22], off offset:252 ; 16-byte Folded Spill
	v_fma_f64 v[29:30], v[0:1], v[19:20], -v[6:7]
	v_mul_f64_e32 v[0:1], v[0:1], v[21:22]
	s_delay_alu instid0(VALU_DEP_1)
	v_fma_f64 v[31:32], v[2:3], v[19:20], v[0:1]
	ds_load_b128 v[0:3], v140 offset:10080
	ds_load_b128 v[19:22], v140 offset:11088
	s_wait_loadcnt 0x0
	scratch_store_b128 off, v[23:26], off offset:268 ; 16-byte Folded Spill
	s_wait_dscnt 0x1
	v_mul_f64_e32 v[6:7], v[2:3], v[25:26]
	s_delay_alu instid0(VALU_DEP_1) | instskip(SKIP_3) | instid1(VALU_DEP_3)
	v_fma_f64 v[33:34], v[0:1], v[23:24], -v[6:7]
	v_mul_f64_e32 v[0:1], v[0:1], v[25:26]
	v_and_b32_e32 v7, 0xff, v4
	v_and_b32_e32 v6, 0xff, v28
	v_fma_f64 v[35:36], v[2:3], v[23:24], v[0:1]
	s_delay_alu instid0(VALU_DEP_3) | instskip(NEXT) | instid1(VALU_DEP_1)
	v_mul_lo_u16 v0, 0xab, v7
	v_lshrrev_b16 v27, 9, v0
	s_delay_alu instid0(VALU_DEP_1) | instskip(NEXT) | instid1(VALU_DEP_1)
	v_mul_lo_u16 v0, v27, 3
	v_sub_nc_u16 v0, v4, v0
	s_delay_alu instid0(VALU_DEP_1) | instskip(NEXT) | instid1(VALU_DEP_1)
	v_and_b32_e32 v77, 0xff, v0
	v_lshlrev_b32_e32 v0, 5, v77
	s_clause 0x1
	global_load_b128 v[39:42], v0, s[10:11]
	global_load_b128 v[43:46], v0, s[10:11] offset:16
	ds_load_b128 v[0:3], v140 offset:6048
	ds_load_b128 v[23:26], v140 offset:7056
	s_wait_loadcnt_dscnt 0x101
	v_mul_f64_e32 v[13:14], v[2:3], v[41:42]
	scratch_store_b128 off, v[39:42], off offset:384 ; 16-byte Folded Spill
	s_wait_loadcnt 0x0
	scratch_store_b128 off, v[43:46], off offset:368 ; 16-byte Folded Spill
	v_fma_f64 v[37:38], v[0:1], v[39:40], -v[13:14]
	v_mul_f64_e32 v[0:1], v[0:1], v[41:42]
	s_delay_alu instid0(VALU_DEP_1) | instskip(SKIP_1) | instid1(VALU_DEP_1)
	v_fma_f64 v[39:40], v[2:3], v[39:40], v[0:1]
	v_mul_f64_e32 v[0:1], v[21:22], v[45:46]
	v_fma_f64 v[41:42], v[19:20], v[43:44], -v[0:1]
	v_mul_f64_e32 v[0:1], v[19:20], v[45:46]
	s_delay_alu instid0(VALU_DEP_1) | instskip(SKIP_1) | instid1(VALU_DEP_1)
	v_fma_f64 v[43:44], v[21:22], v[43:44], v[0:1]
	v_mul_lo_u16 v0, 0xab, v6
	v_lshrrev_b16 v78, 9, v0
	s_delay_alu instid0(VALU_DEP_1) | instskip(NEXT) | instid1(VALU_DEP_1)
	v_mul_lo_u16 v0, v78, 3
	v_sub_nc_u16 v0, v28, v0
	s_delay_alu instid0(VALU_DEP_1) | instskip(NEXT) | instid1(VALU_DEP_1)
	v_and_b32_e32 v79, 0xff, v0
	v_lshlrev_b32_e32 v0, 5, v79
	s_clause 0x1
	global_load_b128 v[19:22], v0, s[10:11]
	global_load_b128 v[45:48], v0, s[10:11] offset:16
	s_wait_loadcnt_dscnt 0x100
	v_mul_f64_e32 v[0:1], v[25:26], v[21:22]
	scratch_store_b128 off, v[19:22], off offset:416 ; 16-byte Folded Spill
	v_fma_f64 v[49:50], v[23:24], v[19:20], -v[0:1]
	v_mul_f64_e32 v[0:1], v[23:24], v[21:22]
	s_delay_alu instid0(VALU_DEP_1)
	v_fma_f64 v[51:52], v[25:26], v[19:20], v[0:1]
	ds_load_b128 v[0:3], v140 offset:12096
	ds_load_b128 v[19:22], v140 offset:13104
	s_wait_loadcnt 0x0
	scratch_store_b128 off, v[45:48], off offset:400 ; 16-byte Folded Spill
	s_wait_dscnt 0x1
	v_mul_f64_e32 v[13:14], v[2:3], v[47:48]
	s_delay_alu instid0(VALU_DEP_1) | instskip(SKIP_3) | instid1(VALU_DEP_4)
	v_fma_f64 v[53:54], v[0:1], v[45:46], -v[13:14]
	v_mul_f64_e32 v[0:1], v[0:1], v[47:48]
	v_and_b32_e32 v13, 0xff, v10
	v_and_b32_e32 v14, 0xffff, v9
	v_add_f64_e32 v[73:74], v[49:50], v[53:54]
	s_delay_alu instid0(VALU_DEP_4) | instskip(NEXT) | instid1(VALU_DEP_4)
	v_fma_f64 v[55:56], v[2:3], v[45:46], v[0:1]
	v_mul_lo_u16 v0, 0xab, v13
	s_delay_alu instid0(VALU_DEP_1) | instskip(NEXT) | instid1(VALU_DEP_1)
	v_lshrrev_b16 v80, 9, v0
	v_mul_lo_u16 v0, v80, 3
	s_delay_alu instid0(VALU_DEP_1) | instskip(NEXT) | instid1(VALU_DEP_1)
	v_sub_nc_u16 v0, v10, v0
	v_and_b32_e32 v81, 0xff, v0
	s_delay_alu instid0(VALU_DEP_1)
	v_lshlrev_b32_e32 v0, 5, v81
	s_clause 0x1
	global_load_b128 v[59:62], v0, s[10:11]
	global_load_b128 v[63:66], v0, s[10:11] offset:16
	ds_load_b128 v[0:3], v140 offset:8064
	ds_load_b128 v[23:26], v140 offset:9072
	v_add_f64_e32 v[75:76], v[51:52], v[55:56]
	s_wait_loadcnt_dscnt 0x101
	v_mul_f64_e32 v[45:46], v[2:3], v[61:62]
	scratch_store_b128 off, v[59:62], off offset:452 ; 16-byte Folded Spill
	s_wait_loadcnt 0x0
	scratch_store_b128 off, v[63:66], off offset:436 ; 16-byte Folded Spill
	v_fma_f64 v[57:58], v[0:1], v[59:60], -v[45:46]
	v_mul_f64_e32 v[0:1], v[0:1], v[61:62]
	s_delay_alu instid0(VALU_DEP_1) | instskip(SKIP_1) | instid1(VALU_DEP_1)
	v_fma_f64 v[59:60], v[2:3], v[59:60], v[0:1]
	v_mul_f64_e32 v[0:1], v[21:22], v[65:66]
	v_fma_f64 v[61:62], v[19:20], v[63:64], -v[0:1]
	v_mul_f64_e32 v[0:1], v[19:20], v[65:66]
	s_delay_alu instid0(VALU_DEP_1) | instskip(SKIP_1) | instid1(VALU_DEP_1)
	v_fma_f64 v[63:64], v[21:22], v[63:64], v[0:1]
	v_mul_u32_u24_e32 v0, 0xaaab, v14
	v_lshrrev_b32_e32 v82, 17, v0
	s_delay_alu instid0(VALU_DEP_1) | instskip(NEXT) | instid1(VALU_DEP_1)
	v_mul_lo_u16 v0, v82, 3
	v_sub_nc_u16 v83, v9, v0
	s_delay_alu instid0(VALU_DEP_1) | instskip(NEXT) | instid1(VALU_DEP_1)
	v_lshlrev_b16 v0, 1, v83
	v_and_b32_e32 v0, 0xffff, v0
	s_delay_alu instid0(VALU_DEP_1)
	v_lshlrev_b32_e32 v0, 4, v0
	s_clause 0x1
	global_load_b128 v[19:22], v0, s[10:11]
	global_load_b128 v[45:48], v0, s[10:11] offset:16
	s_wait_loadcnt_dscnt 0x100
	v_mul_f64_e32 v[0:1], v[25:26], v[21:22]
	scratch_store_b128 off, v[19:22], off offset:484 ; 16-byte Folded Spill
	s_wait_loadcnt 0x0
	scratch_store_b128 off, v[45:48], off offset:468 ; 16-byte Folded Spill
	v_fma_f64 v[65:66], v[23:24], v[19:20], -v[0:1]
	v_mul_f64_e32 v[0:1], v[23:24], v[21:22]
	v_add_f64_e32 v[23:24], v[29:30], v[33:34]
	s_delay_alu instid0(VALU_DEP_2) | instskip(SKIP_3) | instid1(VALU_DEP_1)
	v_fma_f64 v[67:68], v[25:26], v[19:20], v[0:1]
	ds_load_b128 v[0:3], v140 offset:14112
	s_wait_dscnt 0x0
	v_mul_f64_e32 v[19:20], v[2:3], v[47:48]
	v_fma_f64 v[69:70], v[0:1], v[45:46], -v[19:20]
	v_mul_f64_e32 v[0:1], v[0:1], v[47:48]
	s_delay_alu instid0(VALU_DEP_1)
	v_fma_f64 v[71:72], v[2:3], v[45:46], v[0:1]
	ds_load_b128 v[0:3], v140
	ds_load_b128 v[19:22], v140 offset:1008
	s_wait_dscnt 0x1
	v_fma_f64 v[25:26], v[23:24], -0.5, v[0:1]
	v_add_f64_e32 v[23:24], v[31:32], v[35:36]
	v_add_f64_e32 v[0:1], v[0:1], v[29:30]
	s_delay_alu instid0(VALU_DEP_2) | instskip(SKIP_2) | instid1(VALU_DEP_4)
	v_fma_f64 v[45:46], v[23:24], -0.5, v[2:3]
	v_add_f64_e32 v[2:3], v[2:3], v[31:32]
	v_add_f64_e64 v[31:32], v[31:32], -v[35:36]
	v_add_f64_e32 v[0:1], v[0:1], v[33:34]
	v_add_f64_e64 v[33:34], v[29:30], -v[33:34]
	s_delay_alu instid0(VALU_DEP_4) | instskip(NEXT) | instid1(VALU_DEP_4)
	v_add_f64_e32 v[2:3], v[2:3], v[35:36]
	v_fma_f64 v[23:24], v[31:32], s[2:3], v[25:26]
	v_fma_f64 v[29:30], v[31:32], s[12:13], v[25:26]
	s_delay_alu instid0(VALU_DEP_4) | instskip(SKIP_3) | instid1(VALU_DEP_1)
	v_fma_f64 v[25:26], v[33:34], s[12:13], v[45:46]
	v_fma_f64 v[31:32], v[33:34], s[2:3], v[45:46]
	v_add_f64_e32 v[33:34], v[37:38], v[41:42]
	s_wait_dscnt 0x0
	v_fma_f64 v[35:36], v[33:34], -0.5, v[19:20]
	v_add_f64_e32 v[33:34], v[39:40], v[43:44]
	v_add_f64_e32 v[19:20], v[19:20], v[37:38]
	s_delay_alu instid0(VALU_DEP_2) | instskip(SKIP_2) | instid1(VALU_DEP_4)
	v_fma_f64 v[45:46], v[33:34], -0.5, v[21:22]
	v_add_f64_e32 v[21:22], v[21:22], v[39:40]
	v_add_f64_e64 v[39:40], v[39:40], -v[43:44]
	v_add_f64_e32 v[19:20], v[19:20], v[41:42]
	v_add_f64_e64 v[41:42], v[37:38], -v[41:42]
	s_delay_alu instid0(VALU_DEP_4) | instskip(NEXT) | instid1(VALU_DEP_4)
	v_add_f64_e32 v[21:22], v[21:22], v[43:44]
	v_fma_f64 v[33:34], v[39:40], s[2:3], v[35:36]
	v_fma_f64 v[37:38], v[39:40], s[12:13], v[35:36]
	s_delay_alu instid0(VALU_DEP_4)
	v_fma_f64 v[35:36], v[41:42], s[12:13], v[45:46]
	v_fma_f64 v[39:40], v[41:42], s[2:3], v[45:46]
	ds_load_b128 v[41:44], v140 offset:2016
	ds_load_b128 v[45:48], v140 offset:3024
	global_wb scope:SCOPE_SE
	s_wait_storecnt_dscnt 0x0
	s_barrier_signal -1
	s_barrier_wait -1
	global_inv scope:SCOPE_SE
	ds_store_b128 v11, v[0:3]
	ds_store_b128 v11, v[23:26] offset:48
	v_and_b32_e32 v0, 0xffff, v27
	scratch_store_b32 off, v11, off offset:564 ; 4-byte Folded Spill
	ds_store_b128 v11, v[29:32] offset:96
	v_mul_u32_u24_e32 v0, 9, v0
	s_delay_alu instid0(VALU_DEP_1)
	v_add_lshl_u32 v0, v0, v77, 4
	ds_store_b128 v0, v[19:22]
	ds_store_b128 v0, v[33:36] offset:48
	v_fma_f64 v[75:76], v[75:76], -0.5, v[43:44]
	v_add_f64_e32 v[43:44], v[43:44], v[51:52]
	v_fma_f64 v[73:74], v[73:74], -0.5, v[41:42]
	v_add_f64_e32 v[41:42], v[41:42], v[49:50]
	v_add_f64_e64 v[51:52], v[51:52], -v[55:56]
	scratch_store_b32 off, v0, off offset:560 ; 4-byte Folded Spill
	ds_store_b128 v0, v[37:40] offset:96
	v_and_b32_e32 v0, 0xffff, v78
	s_delay_alu instid0(VALU_DEP_1) | instskip(NEXT) | instid1(VALU_DEP_1)
	v_mul_u32_u24_e32 v0, 9, v0
	v_add_lshl_u32 v0, v0, v79, 4
	v_add_f64_e32 v[43:44], v[43:44], v[55:56]
	v_add_f64_e64 v[55:56], v[49:50], -v[53:54]
	v_add_f64_e32 v[41:42], v[41:42], v[53:54]
	v_fma_f64 v[49:50], v[51:52], s[2:3], v[73:74]
	v_fma_f64 v[53:54], v[51:52], s[12:13], v[73:74]
	v_add_f64_e32 v[73:74], v[57:58], v[61:62]
	v_fma_f64 v[51:52], v[55:56], s[12:13], v[75:76]
	v_fma_f64 v[55:56], v[55:56], s[2:3], v[75:76]
	v_add_f64_e32 v[75:76], v[59:60], v[63:64]
	ds_store_b128 v0, v[41:44]
	ds_store_b128 v0, v[49:52] offset:48
	v_fma_f64 v[73:74], v[73:74], -0.5, v[45:46]
	v_add_f64_e32 v[45:46], v[45:46], v[57:58]
	v_fma_f64 v[75:76], v[75:76], -0.5, v[47:48]
	v_add_f64_e32 v[47:48], v[47:48], v[59:60]
	v_add_f64_e64 v[59:60], v[59:60], -v[63:64]
	scratch_store_b32 off, v0, off offset:536 ; 4-byte Folded Spill
	ds_store_b128 v0, v[53:56] offset:96
	v_and_b32_e32 v0, 0xffff, v80
	s_delay_alu instid0(VALU_DEP_1) | instskip(NEXT) | instid1(VALU_DEP_1)
	v_mul_u32_u24_e32 v0, 9, v0
	v_add_lshl_u32 v0, v0, v81, 4
	v_add_f64_e32 v[45:46], v[45:46], v[61:62]
	v_add_f64_e32 v[47:48], v[47:48], v[63:64]
	v_add_f64_e64 v[63:64], v[57:58], -v[61:62]
	v_fma_f64 v[57:58], v[59:60], s[2:3], v[73:74]
	v_fma_f64 v[61:62], v[59:60], s[12:13], v[73:74]
	v_add_f64_e32 v[73:74], v[65:66], v[69:70]
	s_delay_alu instid0(VALU_DEP_4) | instskip(SKIP_2) | instid1(VALU_DEP_4)
	v_fma_f64 v[59:60], v[63:64], s[12:13], v[75:76]
	v_fma_f64 v[63:64], v[63:64], s[2:3], v[75:76]
	v_add_f64_e32 v[75:76], v[67:68], v[71:72]
	v_fma_f64 v[73:74], v[73:74], -0.5, v[15:16]
	v_add_f64_e32 v[15:16], v[15:16], v[65:66]
	ds_store_b128 v0, v[45:48]
	ds_store_b128 v0, v[57:60] offset:48
	scratch_store_b32 off, v0, off offset:500 ; 4-byte Folded Spill
	ds_store_b128 v0, v[61:64] offset:96
	v_fma_f64 v[75:76], v[75:76], -0.5, v[17:18]
	v_add_f64_e32 v[17:18], v[17:18], v[67:68]
	v_add_f64_e64 v[67:68], v[67:68], -v[71:72]
	v_add_f64_e32 v[15:16], v[15:16], v[69:70]
	v_mad_u16 v0, v82, 9, v83
	s_delay_alu instid0(VALU_DEP_1) | instskip(NEXT) | instid1(VALU_DEP_1)
	v_and_b32_e32 v0, 0xffff, v0
	v_lshlrev_b32_e32 v0, 4, v0
	v_add_f64_e32 v[17:18], v[17:18], v[71:72]
	v_add_f64_e64 v[71:72], v[65:66], -v[69:70]
	v_fma_f64 v[65:66], v[67:68], s[2:3], v[73:74]
	v_fma_f64 v[69:70], v[67:68], s[12:13], v[73:74]
	s_delay_alu instid0(VALU_DEP_3)
	v_fma_f64 v[67:68], v[71:72], s[12:13], v[75:76]
	v_fma_f64 v[71:72], v[71:72], s[2:3], v[75:76]
	ds_store_b128 v0, v[15:18]
	ds_store_b128 v0, v[65:68] offset:48
	scratch_store_b32 off, v0, off offset:432 ; 4-byte Folded Spill
	ds_store_b128 v0, v[69:72] offset:96
	v_mul_lo_u16 v0, v5, 57
	global_wb scope:SCOPE_SE
	s_wait_storecnt_dscnt 0x0
	s_barrier_signal -1
	s_barrier_wait -1
	global_inv scope:SCOPE_SE
	v_lshrrev_b16 v12, 9, v0
	s_delay_alu instid0(VALU_DEP_1) | instskip(NEXT) | instid1(VALU_DEP_1)
	v_mul_lo_u16 v0, v12, 9
	v_sub_nc_u16 v0, v8, v0
	s_delay_alu instid0(VALU_DEP_1) | instskip(NEXT) | instid1(VALU_DEP_1)
	v_and_b32_e32 v11, 0xff, v0
	v_lshlrev_b32_e32 v0, 5, v11
	s_clause 0x1
	global_load_b128 v[21:24], v0, s[10:11] offset:96
	global_load_b128 v[35:38], v0, s[10:11] offset:112
	ds_load_b128 v[0:3], v140 offset:5040
	ds_load_b128 v[15:18], v140 offset:4032
	s_wait_loadcnt_dscnt 0x101
	v_mul_f64_e32 v[19:20], v[2:3], v[23:24]
	scratch_store_b128 off, v[21:24], off offset:316 ; 16-byte Folded Spill
	v_fma_f64 v[29:30], v[0:1], v[21:22], -v[19:20]
	v_mul_f64_e32 v[0:1], v[0:1], v[23:24]
	s_delay_alu instid0(VALU_DEP_1)
	v_fma_f64 v[31:32], v[2:3], v[21:22], v[0:1]
	ds_load_b128 v[0:3], v140 offset:10080
	ds_load_b128 v[19:22], v140 offset:11088
	s_wait_loadcnt 0x0
	scratch_store_b128 off, v[35:38], off offset:340 ; 16-byte Folded Spill
	s_wait_dscnt 0x1
	v_mul_f64_e32 v[23:24], v[2:3], v[37:38]
	s_delay_alu instid0(VALU_DEP_1) | instskip(SKIP_1) | instid1(VALU_DEP_1)
	v_fma_f64 v[33:34], v[0:1], v[35:36], -v[23:24]
	v_mul_f64_e32 v[0:1], v[0:1], v[37:38]
	v_fma_f64 v[35:36], v[2:3], v[35:36], v[0:1]
	v_mul_lo_u16 v0, v7, 57
	s_delay_alu instid0(VALU_DEP_1) | instskip(NEXT) | instid1(VALU_DEP_1)
	v_lshrrev_b16 v27, 9, v0
	v_mul_lo_u16 v0, v27, 9
	s_delay_alu instid0(VALU_DEP_1) | instskip(NEXT) | instid1(VALU_DEP_1)
	v_sub_nc_u16 v0, v4, v0
	v_and_b32_e32 v77, 0xff, v0
	s_delay_alu instid0(VALU_DEP_1)
	v_lshlrev_b32_e32 v0, 5, v77
	s_clause 0x1
	global_load_b128 v[188:191], v0, s[10:11] offset:96
	global_load_b128 v[184:187], v0, s[10:11] offset:112
	ds_load_b128 v[0:3], v140 offset:6048
	ds_load_b128 v[23:26], v140 offset:7056
	s_wait_loadcnt_dscnt 0x101
	v_mul_f64_e32 v[37:38], v[2:3], v[190:191]
	s_delay_alu instid0(VALU_DEP_1) | instskip(SKIP_1) | instid1(VALU_DEP_1)
	v_fma_f64 v[37:38], v[0:1], v[188:189], -v[37:38]
	v_mul_f64_e32 v[0:1], v[0:1], v[190:191]
	v_fma_f64 v[39:40], v[2:3], v[188:189], v[0:1]
	s_wait_loadcnt 0x0
	v_mul_f64_e32 v[0:1], v[21:22], v[186:187]
	s_delay_alu instid0(VALU_DEP_1) | instskip(SKIP_1) | instid1(VALU_DEP_1)
	v_fma_f64 v[41:42], v[19:20], v[184:185], -v[0:1]
	v_mul_f64_e32 v[0:1], v[19:20], v[186:187]
	v_fma_f64 v[43:44], v[21:22], v[184:185], v[0:1]
	v_mul_lo_u16 v0, v6, 57
	s_delay_alu instid0(VALU_DEP_1) | instskip(NEXT) | instid1(VALU_DEP_1)
	v_lshrrev_b16 v78, 9, v0
	v_mul_lo_u16 v0, v78, 9
	s_delay_alu instid0(VALU_DEP_1) | instskip(NEXT) | instid1(VALU_DEP_1)
	v_sub_nc_u16 v0, v28, v0
	v_and_b32_e32 v79, 0xff, v0
	s_delay_alu instid0(VALU_DEP_1)
	v_lshlrev_b32_e32 v0, 5, v79
	s_clause 0x1
	global_load_b128 v[196:199], v0, s[10:11] offset:96
	global_load_b128 v[192:195], v0, s[10:11] offset:112
	s_wait_loadcnt_dscnt 0x100
	v_mul_f64_e32 v[0:1], v[25:26], v[198:199]
	s_delay_alu instid0(VALU_DEP_1) | instskip(SKIP_1) | instid1(VALU_DEP_1)
	v_fma_f64 v[49:50], v[23:24], v[196:197], -v[0:1]
	v_mul_f64_e32 v[0:1], v[23:24], v[198:199]
	v_fma_f64 v[51:52], v[25:26], v[196:197], v[0:1]
	ds_load_b128 v[0:3], v140 offset:12096
	ds_load_b128 v[19:22], v140 offset:13104
	s_wait_loadcnt_dscnt 0x1
	v_mul_f64_e32 v[23:24], v[2:3], v[194:195]
	s_delay_alu instid0(VALU_DEP_1) | instskip(SKIP_1) | instid1(VALU_DEP_2)
	v_fma_f64 v[53:54], v[0:1], v[192:193], -v[23:24]
	v_mul_f64_e32 v[0:1], v[0:1], v[194:195]
	v_add_f64_e32 v[69:70], v[49:50], v[53:54]
	s_delay_alu instid0(VALU_DEP_2) | instskip(SKIP_1) | instid1(VALU_DEP_1)
	v_fma_f64 v[55:56], v[2:3], v[192:193], v[0:1]
	v_mul_lo_u16 v0, v13, 57
	v_lshrrev_b16 v80, 9, v0
	s_delay_alu instid0(VALU_DEP_1) | instskip(NEXT) | instid1(VALU_DEP_1)
	v_mul_lo_u16 v0, v80, 9
	v_sub_nc_u16 v0, v10, v0
	s_delay_alu instid0(VALU_DEP_1) | instskip(NEXT) | instid1(VALU_DEP_1)
	v_and_b32_e32 v81, 0xff, v0
	v_lshlrev_b32_e32 v0, 5, v81
	s_clause 0x1
	global_load_b128 v[204:207], v0, s[10:11] offset:96
	global_load_b128 v[200:203], v0, s[10:11] offset:112
	ds_load_b128 v[0:3], v140 offset:8064
	ds_load_b128 v[23:26], v140 offset:9072
	v_add_f64_e32 v[71:72], v[51:52], v[55:56]
	s_wait_loadcnt_dscnt 0x101
	v_mul_f64_e32 v[45:46], v[2:3], v[206:207]
	s_delay_alu instid0(VALU_DEP_1) | instskip(SKIP_1) | instid1(VALU_DEP_1)
	v_fma_f64 v[57:58], v[0:1], v[204:205], -v[45:46]
	v_mul_f64_e32 v[0:1], v[0:1], v[206:207]
	v_fma_f64 v[59:60], v[2:3], v[204:205], v[0:1]
	s_wait_loadcnt 0x0
	v_mul_f64_e32 v[0:1], v[21:22], v[202:203]
	s_delay_alu instid0(VALU_DEP_1) | instskip(SKIP_1) | instid1(VALU_DEP_1)
	v_fma_f64 v[61:62], v[19:20], v[200:201], -v[0:1]
	v_mul_f64_e32 v[0:1], v[19:20], v[202:203]
	v_fma_f64 v[63:64], v[21:22], v[200:201], v[0:1]
	v_mul_u32_u24_e32 v0, 0xe38f, v14
	s_delay_alu instid0(VALU_DEP_1) | instskip(NEXT) | instid1(VALU_DEP_1)
	v_lshrrev_b32_e32 v82, 19, v0
	v_mul_lo_u16 v0, v82, 9
	s_delay_alu instid0(VALU_DEP_1) | instskip(NEXT) | instid1(VALU_DEP_1)
	v_sub_nc_u16 v83, v9, v0
	v_lshlrev_b16 v0, 5, v83
	s_delay_alu instid0(VALU_DEP_1) | instskip(NEXT) | instid1(VALU_DEP_1)
	v_and_b32_e32 v0, 0xffff, v0
	v_add_co_u32 v0, s14, s10, v0
	s_wait_alu 0xf1ff
	v_add_co_ci_u32_e64 v1, null, s11, 0, s14
	s_clause 0x1
	global_load_b128 v[212:215], v[0:1], off offset:96
	global_load_b128 v[208:211], v[0:1], off offset:112
	s_mov_b32 s14, s16
	s_wait_loadcnt_dscnt 0x100
	v_mul_f64_e32 v[0:1], v[25:26], v[214:215]
	s_delay_alu instid0(VALU_DEP_1) | instskip(SKIP_2) | instid1(VALU_DEP_3)
	v_fma_f64 v[9:10], v[23:24], v[212:213], -v[0:1]
	v_mul_f64_e32 v[0:1], v[23:24], v[214:215]
	v_add_f64_e32 v[23:24], v[29:30], v[33:34]
	v_add_f64_e32 v[73:74], v[15:16], v[9:10]
	s_delay_alu instid0(VALU_DEP_3) | instskip(SKIP_3) | instid1(VALU_DEP_1)
	v_fma_f64 v[13:14], v[25:26], v[212:213], v[0:1]
	ds_load_b128 v[0:3], v140 offset:14112
	s_wait_loadcnt_dscnt 0x0
	v_mul_f64_e32 v[19:20], v[2:3], v[210:211]
	v_fma_f64 v[65:66], v[0:1], v[208:209], -v[19:20]
	v_mul_f64_e32 v[0:1], v[0:1], v[210:211]
	s_delay_alu instid0(VALU_DEP_1)
	v_fma_f64 v[67:68], v[2:3], v[208:209], v[0:1]
	ds_load_b128 v[0:3], v140
	ds_load_b128 v[19:22], v140 offset:1008
	s_wait_dscnt 0x1
	v_fma_f64 v[25:26], v[23:24], -0.5, v[0:1]
	v_add_f64_e32 v[23:24], v[31:32], v[35:36]
	v_add_f64_e32 v[0:1], v[0:1], v[29:30]
	v_add_f64_e64 v[75:76], v[13:14], -v[67:68]
	s_delay_alu instid0(VALU_DEP_3) | instskip(SKIP_4) | instid1(VALU_DEP_4)
	v_fma_f64 v[45:46], v[23:24], -0.5, v[2:3]
	v_add_f64_e32 v[2:3], v[2:3], v[31:32]
	v_add_f64_e64 v[31:32], v[31:32], -v[35:36]
	v_add_f64_e32 v[0:1], v[0:1], v[33:34]
	v_add_f64_e64 v[33:34], v[29:30], -v[33:34]
	v_add_f64_e32 v[2:3], v[2:3], v[35:36]
	s_delay_alu instid0(VALU_DEP_4) | instskip(SKIP_1) | instid1(VALU_DEP_4)
	v_fma_f64 v[23:24], v[31:32], s[2:3], v[25:26]
	v_fma_f64 v[29:30], v[31:32], s[12:13], v[25:26]
	;; [unrolled: 1-line block ×4, first 2 shown]
	v_add_f64_e32 v[33:34], v[37:38], v[41:42]
	s_wait_dscnt 0x0
	s_delay_alu instid0(VALU_DEP_1) | instskip(SKIP_2) | instid1(VALU_DEP_2)
	v_fma_f64 v[35:36], v[33:34], -0.5, v[19:20]
	v_add_f64_e32 v[33:34], v[39:40], v[43:44]
	v_add_f64_e32 v[19:20], v[19:20], v[37:38]
	v_fma_f64 v[45:46], v[33:34], -0.5, v[21:22]
	v_add_f64_e32 v[21:22], v[21:22], v[39:40]
	v_add_f64_e64 v[39:40], v[39:40], -v[43:44]
	s_delay_alu instid0(VALU_DEP_4) | instskip(SKIP_1) | instid1(VALU_DEP_4)
	v_add_f64_e32 v[19:20], v[19:20], v[41:42]
	v_add_f64_e64 v[41:42], v[37:38], -v[41:42]
	v_add_f64_e32 v[21:22], v[21:22], v[43:44]
	s_delay_alu instid0(VALU_DEP_4) | instskip(SKIP_1) | instid1(VALU_DEP_4)
	v_fma_f64 v[33:34], v[39:40], s[2:3], v[35:36]
	v_fma_f64 v[37:38], v[39:40], s[12:13], v[35:36]
	;; [unrolled: 1-line block ×4, first 2 shown]
	ds_load_b128 v[41:44], v140 offset:2016
	ds_load_b128 v[45:48], v140 offset:3024
	global_wb scope:SCOPE_SE
	s_wait_storecnt_dscnt 0x0
	s_barrier_signal -1
	s_barrier_wait -1
	global_inv scope:SCOPE_SE
	v_fma_f64 v[71:72], v[71:72], -0.5, v[43:44]
	v_add_f64_e32 v[43:44], v[43:44], v[51:52]
	v_fma_f64 v[69:70], v[69:70], -0.5, v[41:42]
	v_add_f64_e32 v[41:42], v[41:42], v[49:50]
	v_add_f64_e64 v[51:52], v[51:52], -v[55:56]
	s_delay_alu instid0(VALU_DEP_4) | instskip(SKIP_1) | instid1(VALU_DEP_4)
	v_add_f64_e32 v[43:44], v[43:44], v[55:56]
	v_add_f64_e64 v[55:56], v[49:50], -v[53:54]
	v_add_f64_e32 v[41:42], v[41:42], v[53:54]
	s_delay_alu instid0(VALU_DEP_4)
	v_fma_f64 v[49:50], v[51:52], s[2:3], v[69:70]
	v_fma_f64 v[53:54], v[51:52], s[12:13], v[69:70]
	v_add_f64_e32 v[69:70], v[57:58], v[61:62]
	v_fma_f64 v[51:52], v[55:56], s[12:13], v[71:72]
	v_fma_f64 v[55:56], v[55:56], s[2:3], v[71:72]
	v_add_f64_e32 v[71:72], v[59:60], v[63:64]
	s_delay_alu instid0(VALU_DEP_4) | instskip(SKIP_1) | instid1(VALU_DEP_3)
	v_fma_f64 v[69:70], v[69:70], -0.5, v[45:46]
	v_add_f64_e32 v[45:46], v[45:46], v[57:58]
	v_fma_f64 v[71:72], v[71:72], -0.5, v[47:48]
	v_add_f64_e32 v[47:48], v[47:48], v[59:60]
	v_add_f64_e64 v[59:60], v[59:60], -v[63:64]
	s_delay_alu instid0(VALU_DEP_4) | instskip(NEXT) | instid1(VALU_DEP_3)
	v_add_f64_e32 v[45:46], v[45:46], v[61:62]
	v_add_f64_e32 v[47:48], v[47:48], v[63:64]
	v_add_f64_e64 v[63:64], v[57:58], -v[61:62]
	s_delay_alu instid0(VALU_DEP_4)
	v_fma_f64 v[57:58], v[59:60], s[2:3], v[69:70]
	v_fma_f64 v[61:62], v[59:60], s[12:13], v[69:70]
	v_add_f64_e32 v[69:70], v[9:10], v[65:66]
	v_add_f64_e64 v[9:10], v[9:10], -v[65:66]
	v_fma_f64 v[59:60], v[63:64], s[12:13], v[71:72]
	v_fma_f64 v[63:64], v[63:64], s[2:3], v[71:72]
	v_add_f64_e32 v[71:72], v[13:14], v[67:68]
	v_fma_f64 v[69:70], v[69:70], -0.5, v[15:16]
	s_delay_alu instid0(VALU_DEP_2) | instskip(SKIP_2) | instid1(VALU_DEP_4)
	v_fma_f64 v[71:72], v[71:72], -0.5, v[17:18]
	v_add_f64_e32 v[17:18], v[17:18], v[13:14]
	v_add_f64_e32 v[13:14], v[73:74], v[65:66]
	v_fma_f64 v[65:66], v[75:76], s[2:3], v[69:70]
	v_fma_f64 v[69:70], v[75:76], s[12:13], v[69:70]
	s_delay_alu instid0(VALU_DEP_4)
	v_add_f64_e32 v[15:16], v[17:18], v[67:68]
	v_fma_f64 v[67:68], v[9:10], s[12:13], v[71:72]
	v_fma_f64 v[71:72], v[9:10], s[2:3], v[71:72]
	v_mul_lo_u16 v9, v12, 27
	s_mov_b32 s2, 0x4755a5e
	s_mov_b32 s3, 0x3fe2cf23
	;; [unrolled: 1-line block ×3, first 2 shown]
	s_wait_alu 0xfffe
	s_mov_b32 s12, s2
	v_and_b32_e32 v9, 0xff, v9
	s_delay_alu instid0(VALU_DEP_1)
	v_add_lshl_u32 v9, v9, v11, 4
	ds_store_b128 v9, v[0:3]
	ds_store_b128 v9, v[23:26] offset:144
	v_and_b32_e32 v0, 0xffff, v27
	scratch_store_b32 off, v9, off offset:588 ; 4-byte Folded Spill
	ds_store_b128 v9, v[29:32] offset:288
	v_mul_u32_u24_e32 v0, 27, v0
	s_delay_alu instid0(VALU_DEP_1)
	v_add_lshl_u32 v0, v0, v77, 4
	ds_store_b128 v0, v[19:22]
	ds_store_b128 v0, v[33:36] offset:144
	scratch_store_b32 off, v0, off offset:584 ; 4-byte Folded Spill
	ds_store_b128 v0, v[37:40] offset:288
	v_and_b32_e32 v0, 0xffff, v78
	s_delay_alu instid0(VALU_DEP_1) | instskip(NEXT) | instid1(VALU_DEP_1)
	v_mul_u32_u24_e32 v0, 27, v0
	v_add_lshl_u32 v0, v0, v79, 4
	ds_store_b128 v0, v[41:44]
	ds_store_b128 v0, v[49:52] offset:144
	scratch_store_b32 off, v0, off offset:580 ; 4-byte Folded Spill
	ds_store_b128 v0, v[53:56] offset:288
	v_and_b32_e32 v0, 0xffff, v80
	s_delay_alu instid0(VALU_DEP_1) | instskip(NEXT) | instid1(VALU_DEP_1)
	v_mul_u32_u24_e32 v0, 27, v0
	v_add_lshl_u32 v0, v0, v81, 4
	ds_store_b128 v0, v[45:48]
	ds_store_b128 v0, v[57:60] offset:144
	scratch_store_b32 off, v0, off offset:576 ; 4-byte Folded Spill
	ds_store_b128 v0, v[61:64] offset:288
	v_mad_u16 v0, v82, 27, v83
	s_delay_alu instid0(VALU_DEP_1) | instskip(NEXT) | instid1(VALU_DEP_1)
	v_and_b32_e32 v0, 0xffff, v0
	v_lshlrev_b32_e32 v0, 4, v0
	ds_store_b128 v0, v[13:16]
	ds_store_b128 v0, v[65:68] offset:144
	scratch_store_b32 off, v0, off offset:572 ; 4-byte Folded Spill
	ds_store_b128 v0, v[69:72] offset:288
	v_mul_lo_u16 v0, v5, 19
	global_wb scope:SCOPE_SE
	s_wait_storecnt_dscnt 0x0
	s_barrier_signal -1
	s_barrier_wait -1
	global_inv scope:SCOPE_SE
	v_lshrrev_b16 v0, 9, v0
	s_delay_alu instid0(VALU_DEP_1) | instskip(SKIP_1) | instid1(VALU_DEP_2)
	v_mul_lo_u16 v1, v0, 27
	v_and_b32_e32 v0, 0xffff, v0
	v_sub_nc_u16 v1, v8, v1
	s_delay_alu instid0(VALU_DEP_2) | instskip(NEXT) | instid1(VALU_DEP_2)
	v_mul_u32_u24_e32 v0, 0x87, v0
	v_and_b32_e32 v1, 0xff, v1
	s_delay_alu instid0(VALU_DEP_1)
	v_lshlrev_b32_e32 v2, 6, v1
	s_clause 0x1
	global_load_b128 v[19:22], v2, s[10:11] offset:384
	global_load_b128 v[29:32], v2, s[10:11] offset:400
	ds_load_b128 v[9:12], v140 offset:3024
	ds_load_b128 v[13:16], v140 offset:2016
	v_add_lshl_u32 v0, v0, v1, 4
	s_wait_loadcnt_dscnt 0x101
	v_mul_f64_e32 v[17:18], v[11:12], v[21:22]
	scratch_store_b128 off, v[19:22], off offset:284 ; 16-byte Folded Spill
	v_fma_f64 v[25:26], v[9:10], v[19:20], -v[17:18]
	v_mul_f64_e32 v[9:10], v[9:10], v[21:22]
	s_delay_alu instid0(VALU_DEP_1)
	v_fma_f64 v[33:34], v[11:12], v[19:20], v[9:10]
	ds_load_b128 v[9:12], v140 offset:6048
	ds_load_b128 v[17:20], v140 offset:7056
	s_wait_loadcnt 0x0
	scratch_store_b128 off, v[29:32], off offset:300 ; 16-byte Folded Spill
	s_wait_dscnt 0x1
	v_mul_f64_e32 v[21:22], v[11:12], v[31:32]
	s_delay_alu instid0(VALU_DEP_1) | instskip(SKIP_1) | instid1(VALU_DEP_1)
	v_fma_f64 v[35:36], v[9:10], v[29:30], -v[21:22]
	v_mul_f64_e32 v[9:10], v[9:10], v[31:32]
	v_fma_f64 v[37:38], v[11:12], v[29:30], v[9:10]
	s_clause 0x1
	global_load_b128 v[29:32], v2, s[10:11] offset:416
	global_load_b128 v[45:48], v2, s[10:11] offset:432
	ds_load_b128 v[9:12], v140 offset:9072
	ds_load_b128 v[21:24], v140 offset:8064
	s_wait_loadcnt_dscnt 0x101
	v_mul_f64_e32 v[2:3], v[11:12], v[31:32]
	scratch_store_b128 off, v[29:32], off offset:504 ; 16-byte Folded Spill
	v_fma_f64 v[39:40], v[9:10], v[29:30], -v[2:3]
	v_mul_f64_e32 v[2:3], v[9:10], v[31:32]
	s_delay_alu instid0(VALU_DEP_2) | instskip(NEXT) | instid1(VALU_DEP_2)
	v_add_f64_e64 v[100:101], v[35:36], -v[39:40]
	v_fma_f64 v[41:42], v[11:12], v[29:30], v[2:3]
	ds_load_b128 v[9:12], v140 offset:12096
	ds_load_b128 v[29:32], v140 offset:13104
	s_wait_loadcnt 0x0
	scratch_store_b128 off, v[45:48], off offset:520 ; 16-byte Folded Spill
	s_wait_dscnt 0x1
	v_mul_f64_e32 v[2:3], v[11:12], v[47:48]
	v_add_f64_e64 v[92:93], v[37:38], -v[41:42]
	s_delay_alu instid0(VALU_DEP_2) | instskip(SKIP_1) | instid1(VALU_DEP_2)
	v_fma_f64 v[43:44], v[9:10], v[45:46], -v[2:3]
	v_mul_f64_e32 v[2:3], v[9:10], v[47:48]
	v_add_f64_e64 v[94:95], v[25:26], -v[43:44]
	s_delay_alu instid0(VALU_DEP_2) | instskip(SKIP_1) | instid1(VALU_DEP_1)
	v_fma_f64 v[45:46], v[11:12], v[45:46], v[2:3]
	v_mul_lo_u16 v2, v7, 19
	v_lshrrev_b16 v27, 9, v2
	s_delay_alu instid0(VALU_DEP_1) | instskip(NEXT) | instid1(VALU_DEP_1)
	v_mul_lo_u16 v2, v27, 27
	v_sub_nc_u16 v2, v4, v2
	s_delay_alu instid0(VALU_DEP_1) | instskip(NEXT) | instid1(VALU_DEP_1)
	v_and_b32_e32 v81, 0xff, v2
	v_lshlrev_b32_e32 v7, 6, v81
	s_clause 0x1
	global_load_b128 v[156:159], v7, s[10:11] offset:384
	global_load_b128 v[55:58], v7, s[10:11] offset:400
	ds_load_b128 v[2:5], v140 offset:4032
	ds_load_b128 v[9:12], v140 offset:5040
	s_wait_loadcnt_dscnt 0x101
	v_mul_f64_e32 v[47:48], v[4:5], v[158:159]
	s_wait_loadcnt 0x0
	scratch_store_b128 off, v[55:58], off offset:540 ; 16-byte Folded Spill
	s_clause 0x1
	global_load_b128 v[160:163], v7, s[10:11] offset:416
	global_load_b128 v[152:155], v7, s[10:11] offset:432
	v_fma_f64 v[49:50], v[2:3], v[156:157], -v[47:48]
	v_mul_f64_e32 v[2:3], v[2:3], v[158:159]
	s_delay_alu instid0(VALU_DEP_1) | instskip(SKIP_1) | instid1(VALU_DEP_1)
	v_fma_f64 v[51:52], v[4:5], v[156:157], v[2:3]
	v_mul_f64_e32 v[2:3], v[19:20], v[57:58]
	v_fma_f64 v[53:54], v[17:18], v[55:56], -v[2:3]
	v_mul_f64_e32 v[2:3], v[17:18], v[57:58]
	s_delay_alu instid0(VALU_DEP_1) | instskip(SKIP_4) | instid1(VALU_DEP_1)
	v_fma_f64 v[55:56], v[19:20], v[55:56], v[2:3]
	ds_load_b128 v[2:5], v140 offset:10080
	ds_load_b128 v[17:20], v140 offset:11088
	s_wait_loadcnt_dscnt 0x101
	v_mul_f64_e32 v[47:48], v[4:5], v[162:163]
	v_fma_f64 v[57:58], v[2:3], v[160:161], -v[47:48]
	v_mul_f64_e32 v[2:3], v[2:3], v[162:163]
	v_add_f64_e64 v[47:48], v[33:34], -v[45:46]
	s_delay_alu instid0(VALU_DEP_2) | instskip(SKIP_2) | instid1(VALU_DEP_1)
	v_fma_f64 v[59:60], v[4:5], v[160:161], v[2:3]
	s_wait_loadcnt 0x0
	v_mul_f64_e32 v[2:3], v[31:32], v[154:155]
	v_fma_f64 v[61:62], v[29:30], v[152:153], -v[2:3]
	v_mul_f64_e32 v[2:3], v[29:30], v[154:155]
	s_delay_alu instid0(VALU_DEP_1) | instskip(SKIP_1) | instid1(VALU_DEP_1)
	v_fma_f64 v[63:64], v[31:32], v[152:153], v[2:3]
	v_mul_lo_u16 v2, v6, 19
	v_lshrrev_b16 v82, 9, v2
	s_delay_alu instid0(VALU_DEP_1) | instskip(NEXT) | instid1(VALU_DEP_1)
	v_mul_lo_u16 v2, v82, 27
	v_sub_nc_u16 v2, v28, v2
	s_delay_alu instid0(VALU_DEP_1) | instskip(NEXT) | instid1(VALU_DEP_1)
	v_and_b32_e32 v83, 0xff, v2
	v_lshlrev_b32_e32 v4, 6, v83
	s_clause 0x3
	global_load_b128 v[172:175], v4, s[10:11] offset:384
	global_load_b128 v[164:167], v4, s[10:11] offset:400
	;; [unrolled: 1-line block ×4, first 2 shown]
	s_wait_loadcnt 0x3
	v_mul_f64_e32 v[2:3], v[11:12], v[174:175]
	s_delay_alu instid0(VALU_DEP_1) | instskip(SKIP_1) | instid1(VALU_DEP_1)
	v_fma_f64 v[65:66], v[9:10], v[172:173], -v[2:3]
	v_mul_f64_e32 v[2:3], v[9:10], v[174:175]
	v_fma_f64 v[67:68], v[11:12], v[172:173], v[2:3]
	s_wait_loadcnt 0x2
	v_mul_f64_e32 v[2:3], v[23:24], v[166:167]
	s_delay_alu instid0(VALU_DEP_1) | instskip(SKIP_1) | instid1(VALU_DEP_1)
	v_fma_f64 v[69:70], v[21:22], v[164:165], -v[2:3]
	v_mul_f64_e32 v[2:3], v[21:22], v[166:167]
	v_fma_f64 v[71:72], v[23:24], v[164:165], v[2:3]
	s_wait_loadcnt_dscnt 0x100
	v_mul_f64_e32 v[2:3], v[19:20], v[178:179]
	s_delay_alu instid0(VALU_DEP_1) | instskip(SKIP_2) | instid1(VALU_DEP_2)
	v_fma_f64 v[73:74], v[17:18], v[176:177], -v[2:3]
	v_mul_f64_e32 v[2:3], v[17:18], v[178:179]
	v_add_f64_e32 v[17:18], v[35:36], v[39:40]
	v_fma_f64 v[75:76], v[19:20], v[176:177], v[2:3]
	ds_load_b128 v[2:5], v140 offset:14112
	s_wait_loadcnt_dscnt 0x0
	v_mul_f64_e32 v[6:7], v[4:5], v[170:171]
	s_delay_alu instid0(VALU_DEP_1) | instskip(SKIP_1) | instid1(VALU_DEP_1)
	v_fma_f64 v[77:78], v[2:3], v[168:169], -v[6:7]
	v_mul_f64_e32 v[2:3], v[2:3], v[170:171]
	v_fma_f64 v[79:80], v[4:5], v[168:169], v[2:3]
	v_add_f64_e64 v[2:3], v[25:26], -v[35:36]
	v_add_f64_e64 v[4:5], v[43:44], -v[39:40]
	s_delay_alu instid0(VALU_DEP_1) | instskip(SKIP_2) | instid1(VALU_DEP_1)
	v_add_f64_e32 v[6:7], v[2:3], v[4:5]
	v_add_f64_e64 v[2:3], v[33:34], -v[37:38]
	v_add_f64_e64 v[4:5], v[45:46], -v[41:42]
	v_add_f64_e32 v[23:24], v[2:3], v[4:5]
	ds_load_b128 v[2:5], v140
	ds_load_b128 v[9:12], v140 offset:1008
	global_wb scope:SCOPE_SE
	s_wait_storecnt_dscnt 0x0
	s_barrier_signal -1
	s_barrier_wait -1
	global_inv scope:SCOPE_SE
	v_fma_f64 v[21:22], v[17:18], -0.5, v[2:3]
	v_add_f64_e32 v[17:18], v[37:38], v[41:42]
	s_delay_alu instid0(VALU_DEP_1) | instskip(NEXT) | instid1(VALU_DEP_3)
	v_fma_f64 v[29:30], v[17:18], -0.5, v[4:5]
	v_fma_f64 v[17:18], v[47:48], s[16:17], v[21:22]
	v_fma_f64 v[21:22], v[47:48], s[14:15], v[21:22]
	s_delay_alu instid0(VALU_DEP_3) | instskip(SKIP_1) | instid1(VALU_DEP_4)
	v_fma_f64 v[19:20], v[94:95], s[14:15], v[29:30]
	v_fma_f64 v[29:30], v[94:95], s[16:17], v[29:30]
	;; [unrolled: 1-line block ×3, first 2 shown]
	s_wait_alu 0xfffe
	s_delay_alu instid0(VALU_DEP_4) | instskip(NEXT) | instid1(VALU_DEP_4)
	v_fma_f64 v[21:22], v[92:93], s[12:13], v[21:22]
	v_fma_f64 v[19:20], v[100:101], s[12:13], v[19:20]
	s_delay_alu instid0(VALU_DEP_4) | instskip(NEXT) | instid1(VALU_DEP_4)
	v_fma_f64 v[29:30], v[100:101], s[2:3], v[29:30]
	v_fma_f64 v[17:18], v[6:7], s[18:19], v[17:18]
	s_delay_alu instid0(VALU_DEP_4) | instskip(SKIP_4) | instid1(VALU_DEP_4)
	v_fma_f64 v[21:22], v[6:7], s[18:19], v[21:22]
	v_add_f64_e32 v[6:7], v[25:26], v[43:44]
	v_fma_f64 v[19:20], v[23:24], s[18:19], v[19:20]
	v_fma_f64 v[23:24], v[23:24], s[18:19], v[29:30]
	v_add_f64_e32 v[29:30], v[33:34], v[45:46]
	v_fma_f64 v[6:7], v[6:7], -0.5, v[2:3]
	v_add_f64_e32 v[2:3], v[2:3], v[25:26]
	v_add_f64_e64 v[25:26], v[35:36], -v[25:26]
	s_delay_alu instid0(VALU_DEP_4) | instskip(SKIP_4) | instid1(VALU_DEP_4)
	v_fma_f64 v[102:103], v[29:30], -0.5, v[4:5]
	v_add_f64_e32 v[4:5], v[4:5], v[33:34]
	v_add_f64_e64 v[33:34], v[37:38], -v[33:34]
	v_add_f64_e32 v[2:3], v[2:3], v[35:36]
	v_add_f64_e64 v[35:36], v[39:40], -v[43:44]
	v_add_f64_e32 v[4:5], v[4:5], v[37:38]
	v_fma_f64 v[37:38], v[100:101], s[16:17], v[102:103]
	s_delay_alu instid0(VALU_DEP_4)
	v_add_f64_e32 v[2:3], v[2:3], v[39:40]
	v_fma_f64 v[39:40], v[100:101], s[14:15], v[102:103]
	v_add_f64_e32 v[25:26], v[25:26], v[35:36]
	v_add_f64_e64 v[100:101], v[49:50], -v[61:62]
	v_add_f64_e64 v[102:103], v[53:54], -v[57:58]
	v_add_f64_e32 v[4:5], v[4:5], v[41:42]
	v_fma_f64 v[35:36], v[94:95], s[12:13], v[37:38]
	v_add_f64_e32 v[29:30], v[2:3], v[43:44]
	v_add_f64_e64 v[2:3], v[41:42], -v[45:46]
	v_fma_f64 v[39:40], v[94:95], s[2:3], v[39:40]
	v_add_f64_e64 v[94:95], v[55:56], -v[59:60]
	v_add_f64_e32 v[31:32], v[4:5], v[45:46]
	v_fma_f64 v[4:5], v[92:93], s[14:15], v[6:7]
	v_fma_f64 v[6:7], v[92:93], s[16:17], v[6:7]
	v_add_f64_e32 v[2:3], v[33:34], v[2:3]
	v_add_f64_e64 v[92:93], v[51:52], -v[63:64]
	s_delay_alu instid0(VALU_DEP_4) | instskip(NEXT) | instid1(VALU_DEP_4)
	v_fma_f64 v[4:5], v[47:48], s[2:3], v[4:5]
	v_fma_f64 v[6:7], v[47:48], s[12:13], v[6:7]
	s_delay_alu instid0(VALU_DEP_4)
	v_fma_f64 v[35:36], v[2:3], s[18:19], v[35:36]
	v_fma_f64 v[39:40], v[2:3], s[18:19], v[39:40]
	v_add_f64_e64 v[2:3], v[49:50], -v[53:54]
	v_fma_f64 v[33:34], v[25:26], s[18:19], v[4:5]
	v_add_f64_e64 v[4:5], v[61:62], -v[57:58]
	;; [unrolled: 2-line block ×3, first 2 shown]
	v_add_f64_e32 v[25:26], v[55:56], v[59:60]
	ds_store_b128 v0, v[29:32]
	ds_store_b128 v0, v[17:20] offset:432
	ds_store_b128 v0, v[33:36] offset:864
	;; [unrolled: 1-line block ×3, first 2 shown]
	scratch_store_b32 off, v0, off offset:556 ; 4-byte Folded Spill
	v_add_f64_e32 v[2:3], v[2:3], v[4:5]
	v_add_f64_e64 v[4:5], v[51:52], -v[55:56]
	ds_store_b128 v0, v[21:24] offset:1728
	v_fma_f64 v[25:26], v[25:26], -0.5, v[11:12]
	v_and_b32_e32 v0, 0xffff, v27
                                        ; implicit-def: $vgpr20_vgpr21
	s_delay_alu instid0(VALU_DEP_1) | instskip(NEXT) | instid1(VALU_DEP_1)
	v_mul_u32_u24_e32 v0, 0x87, v0
	v_add_lshl_u32 v141, v0, v81, 4
	v_and_b32_e32 v0, 0xffff, v82
	s_delay_alu instid0(VALU_DEP_1) | instskip(SKIP_4) | instid1(VALU_DEP_3)
	v_mul_u32_u24_e32 v0, 0x87, v0
	v_add_f64_e32 v[4:5], v[4:5], v[6:7]
	v_add_f64_e32 v[6:7], v[53:54], v[57:58]
	v_fma_f64 v[43:44], v[100:101], s[14:15], v[25:26]
	v_fma_f64 v[25:26], v[100:101], s[16:17], v[25:26]
	v_fma_f64 v[6:7], v[6:7], -0.5, v[9:10]
	s_delay_alu instid0(VALU_DEP_3) | instskip(NEXT) | instid1(VALU_DEP_3)
	v_fma_f64 v[43:44], v[102:103], s[12:13], v[43:44]
	v_fma_f64 v[25:26], v[102:103], s[2:3], v[25:26]
	s_delay_alu instid0(VALU_DEP_3) | instskip(SKIP_1) | instid1(VALU_DEP_4)
	v_fma_f64 v[41:42], v[92:93], s[16:17], v[6:7]
	v_fma_f64 v[6:7], v[92:93], s[14:15], v[6:7]
	;; [unrolled: 1-line block ×3, first 2 shown]
	s_delay_alu instid0(VALU_DEP_4) | instskip(SKIP_4) | instid1(VALU_DEP_4)
	v_fma_f64 v[47:48], v[4:5], s[18:19], v[25:26]
	v_add_f64_e32 v[4:5], v[51:52], v[63:64]
	v_add_f64_e64 v[25:26], v[53:54], -v[49:50]
	v_fma_f64 v[41:42], v[94:95], s[2:3], v[41:42]
	v_fma_f64 v[6:7], v[94:95], s[12:13], v[6:7]
	v_fma_f64 v[4:5], v[4:5], -0.5, v[11:12]
	s_delay_alu instid0(VALU_DEP_3) | instskip(NEXT) | instid1(VALU_DEP_3)
	v_fma_f64 v[41:42], v[2:3], s[18:19], v[41:42]
	v_fma_f64 v[45:46], v[2:3], s[18:19], v[6:7]
	v_add_f64_e32 v[2:3], v[49:50], v[61:62]
	v_add_f64_e32 v[6:7], v[9:10], v[49:50]
	v_add_f64_e64 v[49:50], v[55:56], -v[51:52]
	s_delay_alu instid0(VALU_DEP_3) | instskip(SKIP_1) | instid1(VALU_DEP_4)
	v_fma_f64 v[2:3], v[2:3], -0.5, v[9:10]
	v_add_f64_e32 v[9:10], v[11:12], v[51:52]
	v_add_f64_e32 v[6:7], v[6:7], v[53:54]
	v_add_f64_e64 v[51:52], v[57:58], -v[61:62]
	s_delay_alu instid0(VALU_DEP_4) | instskip(NEXT) | instid1(VALU_DEP_4)
	v_fma_f64 v[53:54], v[94:95], s[14:15], v[2:3]
	v_add_f64_e32 v[9:10], v[9:10], v[55:56]
	s_delay_alu instid0(VALU_DEP_4)
	v_add_f64_e32 v[6:7], v[6:7], v[57:58]
	v_fma_f64 v[2:3], v[94:95], s[16:17], v[2:3]
	v_fma_f64 v[55:56], v[102:103], s[16:17], v[4:5]
	;; [unrolled: 1-line block ×3, first 2 shown]
	v_add_f64_e32 v[25:26], v[25:26], v[51:52]
	v_add_f64_e64 v[94:95], v[69:70], -v[73:74]
	v_add_f64_e32 v[11:12], v[9:10], v[59:60]
	v_add_f64_e32 v[9:10], v[6:7], v[61:62]
	v_add_f64_e64 v[6:7], v[59:60], -v[63:64]
	v_fma_f64 v[2:3], v[92:93], s[12:13], v[2:3]
	v_fma_f64 v[4:5], v[100:101], s[2:3], v[4:5]
	;; [unrolled: 1-line block ×3, first 2 shown]
	v_add_f64_e64 v[61:62], v[67:68], -v[79:80]
	v_add_f64_e32 v[11:12], v[11:12], v[63:64]
	v_add_f64_e64 v[63:64], v[71:72], -v[75:76]
	v_add_f64_e32 v[6:7], v[49:50], v[6:7]
	v_fma_f64 v[49:50], v[92:93], s[2:3], v[53:54]
	v_fma_f64 v[53:54], v[25:26], s[18:19], v[2:3]
	v_add_f64_e64 v[2:3], v[65:66], -v[69:70]
	v_add_f64_e64 v[92:93], v[65:66], -v[77:78]
	v_fma_f64 v[55:56], v[6:7], s[18:19], v[4:5]
	v_add_f64_e64 v[4:5], v[77:78], -v[73:74]
	v_fma_f64 v[51:52], v[6:7], s[18:19], v[51:52]
	;; [unrolled: 2-line block ×3, first 2 shown]
	v_add_f64_e32 v[25:26], v[71:72], v[75:76]
	ds_store_b128 v141, v[9:12]
	ds_store_b128 v141, v[41:44] offset:432
	ds_store_b128 v141, v[49:52] offset:864
	;; [unrolled: 1-line block ×4, first 2 shown]
	v_add_f64_e32 v[2:3], v[2:3], v[4:5]
	v_add_f64_e64 v[4:5], v[67:68], -v[71:72]
	v_fma_f64 v[25:26], v[25:26], -0.5, v[15:16]
	s_delay_alu instid0(VALU_DEP_2) | instskip(SKIP_1) | instid1(VALU_DEP_3)
	v_add_f64_e32 v[6:7], v[4:5], v[6:7]
	v_add_f64_e32 v[4:5], v[69:70], v[73:74]
	v_fma_f64 v[59:60], v[92:93], s[14:15], v[25:26]
	v_fma_f64 v[25:26], v[92:93], s[16:17], v[25:26]
	s_delay_alu instid0(VALU_DEP_3) | instskip(NEXT) | instid1(VALU_DEP_3)
	v_fma_f64 v[4:5], v[4:5], -0.5, v[13:14]
	v_fma_f64 v[59:60], v[94:95], s[12:13], v[59:60]
	s_delay_alu instid0(VALU_DEP_3) | instskip(NEXT) | instid1(VALU_DEP_3)
	v_fma_f64 v[25:26], v[94:95], s[2:3], v[25:26]
	v_fma_f64 v[57:58], v[61:62], s[16:17], v[4:5]
	;; [unrolled: 1-line block ×3, first 2 shown]
	s_delay_alu instid0(VALU_DEP_4) | instskip(NEXT) | instid1(VALU_DEP_4)
	v_fma_f64 v[59:60], v[6:7], s[18:19], v[59:60]
	v_fma_f64 v[6:7], v[6:7], s[18:19], v[25:26]
	v_add_f64_e32 v[25:26], v[67:68], v[79:80]
	v_fma_f64 v[57:58], v[63:64], s[2:3], v[57:58]
	v_fma_f64 v[4:5], v[63:64], s[12:13], v[4:5]
	s_delay_alu instid0(VALU_DEP_3)
	v_fma_f64 v[25:26], v[25:26], -0.5, v[15:16]
	v_add_f64_e32 v[15:16], v[15:16], v[67:68]
	v_add_f64_e64 v[67:68], v[71:72], -v[67:68]
	v_fma_f64 v[57:58], v[2:3], s[18:19], v[57:58]
	v_fma_f64 v[4:5], v[2:3], s[18:19], v[4:5]
	v_add_f64_e32 v[2:3], v[65:66], v[77:78]
	v_add_f64_e32 v[15:16], v[15:16], v[71:72]
	v_add_f64_e64 v[71:72], v[75:76], -v[79:80]
	s_delay_alu instid0(VALU_DEP_3) | instskip(SKIP_4) | instid1(VALU_DEP_4)
	v_fma_f64 v[2:3], v[2:3], -0.5, v[13:14]
	v_add_f64_e32 v[13:14], v[13:14], v[65:66]
	v_add_f64_e64 v[65:66], v[69:70], -v[65:66]
	v_add_f64_e32 v[15:16], v[15:16], v[75:76]
	v_add_f64_e32 v[67:68], v[67:68], v[71:72]
	;; [unrolled: 1-line block ×3, first 2 shown]
	v_add_f64_e64 v[69:70], v[73:74], -v[77:78]
	s_delay_alu instid0(VALU_DEP_4) | instskip(NEXT) | instid1(VALU_DEP_3)
	v_add_f64_e32 v[15:16], v[15:16], v[79:80]
	v_add_f64_e32 v[13:14], v[13:14], v[73:74]
	v_fma_f64 v[73:74], v[63:64], s[14:15], v[2:3]
	v_fma_f64 v[2:3], v[63:64], s[16:17], v[2:3]
	;; [unrolled: 1-line block ×4, first 2 shown]
	v_add_f64_e32 v[65:66], v[65:66], v[69:70]
	v_add_f64_e32 v[13:14], v[13:14], v[77:78]
	v_fma_f64 v[69:70], v[61:62], s[2:3], v[73:74]
	v_fma_f64 v[2:3], v[61:62], s[12:13], v[2:3]
	;; [unrolled: 1-line block ×4, first 2 shown]
	s_load_b64 s[2:3], s[0:1], 0x38
	v_add_co_u32 v32, s0, s8, v140
	s_wait_alu 0xf1ff
	v_add_co_ci_u32_e64 v33, null, s9, 0, s0
	v_fma_f64 v[61:62], v[65:66], s[18:19], v[69:70]
	v_fma_f64 v[65:66], v[65:66], s[18:19], v[2:3]
	;; [unrolled: 1-line block ×4, first 2 shown]
	v_add_lshl_u32 v2, v0, v83, 4
	ds_store_b128 v2, v[13:16]
	ds_store_b128 v2, v[57:60] offset:432
	ds_store_b128 v2, v[61:64] offset:864
	;; [unrolled: 1-line block ×3, first 2 shown]
	scratch_store_b32 off, v2, off offset:568 ; 4-byte Folded Spill
	ds_store_b128 v2, v[4:7] offset:1728
	global_wb scope:SCOPE_SE
	s_wait_storecnt_dscnt 0x0
	s_wait_kmcnt 0x0
	s_barrier_signal -1
	s_barrier_wait -1
	global_inv scope:SCOPE_SE
	ds_load_b128 v[12:15], v140
	ds_load_b128 v[8:11], v140 offset:1008
	ds_load_b128 v[224:227], v140 offset:2160
	;; [unrolled: 1-line block ×13, first 2 shown]
                                        ; implicit-def: $vgpr16_vgpr17
	s_and_saveexec_b32 s0, vcc_lo
	s_cbranch_execz .LBB0_3
; %bb.2:
	ds_load_b128 v[4:7], v140 offset:2016
	ds_load_b128 v[112:115], v140 offset:4176
	;; [unrolled: 1-line block ×7, first 2 shown]
.LBB0_3:
	s_wait_alu 0xfffe
	s_or_b32 exec_lo, exec_lo, s0
	v_mad_co_u64_u32 v[29:30], null, 0x60, v96, s[10:11]
	s_mov_b32 s16, 0xe976ee23
	s_mov_b32 s17, 0xbfe11646
	;; [unrolled: 1-line block ×6, first 2 shown]
	s_clause 0x1
	global_load_b128 v[180:183], v[29:30], off offset:2112
	global_load_b128 v[216:219], v[29:30], off offset:2128
	s_mov_b32 s12, 0xaaaaaaaa
	s_mov_b32 s14, 0x5476071b
	s_mov_b32 s20, 0xb247c609
	s_mov_b32 s13, 0xbff2aaaa
	s_mov_b32 s15, 0x3fe77f67
	s_mov_b32 s25, 0xbfe77f67
	s_mov_b32 s21, 0x3fd5d0dc
	s_mov_b32 s27, 0xbfd5d0dc
	s_mov_b32 s26, s20
	s_wait_alu 0xfffe
	s_mov_b32 s24, s14
	s_wait_loadcnt_dscnt 0x10b
	v_mul_f64_e32 v[34:35], v[226:227], v[182:183]
	s_delay_alu instid0(VALU_DEP_1) | instskip(SKIP_1) | instid1(VALU_DEP_1)
	v_fma_f64 v[66:67], v[224:225], v[180:181], -v[34:35]
	v_mul_f64_e32 v[34:35], v[224:225], v[182:183]
	v_fma_f64 v[68:69], v[226:227], v[180:181], v[34:35]
	s_wait_loadcnt_dscnt 0x9
	v_mul_f64_e32 v[34:35], v[222:223], v[218:219]
	s_delay_alu instid0(VALU_DEP_1) | instskip(SKIP_1) | instid1(VALU_DEP_1)
	v_fma_f64 v[70:71], v[220:221], v[216:217], -v[34:35]
	v_mul_f64_e32 v[34:35], v[220:221], v[218:219]
	v_fma_f64 v[72:73], v[222:223], v[216:217], v[34:35]
	s_clause 0x1
	global_load_b128 v[220:223], v[29:30], off offset:2192
	global_load_b128 v[224:227], v[29:30], off offset:2176
	s_wait_loadcnt_dscnt 0x101
	v_mul_f64_e32 v[34:35], v[234:235], v[222:223]
	s_delay_alu instid0(VALU_DEP_1) | instskip(SKIP_1) | instid1(VALU_DEP_1)
	v_fma_f64 v[74:75], v[232:233], v[220:221], -v[34:35]
	v_mul_f64_e32 v[34:35], v[232:233], v[222:223]
	v_fma_f64 v[76:77], v[234:235], v[220:221], v[34:35]
	s_wait_loadcnt 0x0
	v_mul_f64_e32 v[34:35], v[230:231], v[226:227]
	s_delay_alu instid0(VALU_DEP_1) | instskip(SKIP_1) | instid1(VALU_DEP_1)
	v_fma_f64 v[78:79], v[228:229], v[224:225], -v[34:35]
	v_mul_f64_e32 v[34:35], v[228:229], v[226:227]
	v_fma_f64 v[80:81], v[230:231], v[224:225], v[34:35]
	s_clause 0x1
	global_load_b128 v[228:231], v[29:30], off offset:8160
	global_load_b128 v[232:235], v[29:30], off offset:8176
	s_wait_loadcnt 0x1
	v_mul_f64_e32 v[34:35], v[242:243], v[230:231]
	v_mul_f64_e32 v[36:37], v[240:241], v[230:231]
	s_wait_loadcnt 0x0
	v_mul_f64_e32 v[38:39], v[238:239], v[234:235]
	v_mul_f64_e32 v[40:41], v[236:237], v[234:235]
	s_delay_alu instid0(VALU_DEP_4) | instskip(NEXT) | instid1(VALU_DEP_4)
	v_fma_f64 v[34:35], v[240:241], v[228:229], -v[34:35]
	v_fma_f64 v[36:37], v[242:243], v[228:229], v[36:37]
	s_delay_alu instid0(VALU_DEP_4) | instskip(NEXT) | instid1(VALU_DEP_4)
	v_fma_f64 v[38:39], v[236:237], v[232:233], -v[38:39]
	v_fma_f64 v[40:41], v[238:239], v[232:233], v[40:41]
	s_clause 0x1
	global_load_b128 v[236:239], v[29:30], off offset:8240
	global_load_b128 v[240:243], v[29:30], off offset:8224
	s_wait_loadcnt_dscnt 0x100
	v_mul_f64_e32 v[42:43], v[250:251], v[238:239]
	v_mul_f64_e32 v[44:45], v[248:249], v[238:239]
	s_wait_loadcnt 0x0
	v_mul_f64_e32 v[46:47], v[246:247], v[242:243]
	v_mul_f64_e32 v[48:49], v[244:245], v[242:243]
	s_delay_alu instid0(VALU_DEP_4) | instskip(NEXT) | instid1(VALU_DEP_4)
	v_fma_f64 v[42:43], v[248:249], v[236:237], -v[42:43]
	v_fma_f64 v[44:45], v[250:251], v[236:237], v[44:45]
	s_delay_alu instid0(VALU_DEP_4) | instskip(NEXT) | instid1(VALU_DEP_4)
	v_fma_f64 v[46:47], v[244:245], v[240:241], -v[46:47]
	v_fma_f64 v[48:49], v[246:247], v[240:241], v[48:49]
	s_clause 0x1
	global_load_b128 v[244:247], v[29:30], off offset:2144
	global_load_b128 v[248:251], v[29:30], off offset:2160
	v_add_f64_e32 v[108:109], v[36:37], v[44:45]
	v_add_f64_e64 v[36:37], v[36:37], -v[44:45]
	v_add_f64_e32 v[110:111], v[40:41], v[48:49]
	v_add_f64_e64 v[40:41], v[40:41], -v[48:49]
	s_wait_loadcnt 0x1
	v_mul_f64_e32 v[50:51], v[102:103], v[246:247]
	s_delay_alu instid0(VALU_DEP_1) | instskip(SKIP_1) | instid1(VALU_DEP_1)
	v_fma_f64 v[142:143], v[100:101], v[244:245], -v[50:51]
	v_mul_f64_e32 v[50:51], v[100:101], v[246:247]
	v_fma_f64 v[86:87], v[102:103], v[244:245], v[50:51]
	s_wait_loadcnt 0x0
	v_mul_f64_e32 v[50:51], v[2:3], v[250:251]
	s_delay_alu instid0(VALU_DEP_1) | instskip(SKIP_1) | instid1(VALU_DEP_1)
	v_fma_f64 v[88:89], v[0:1], v[248:249], -v[50:51]
	v_mul_f64_e32 v[0:1], v[0:1], v[250:251]
	v_fma_f64 v[90:91], v[2:3], v[248:249], v[0:1]
	s_clause 0x1
	global_load_b128 v[252:255], v[29:30], off offset:8192
	global_load_b128 v[0:3], v[29:30], off offset:8208
	scratch_store_b32 off, v96, off offset:8 ; 4-byte Folded Spill
	s_wait_loadcnt 0x1
	v_mul_f64_e32 v[29:30], v[94:95], v[254:255]
	s_delay_alu instid0(VALU_DEP_1) | instskip(SKIP_1) | instid1(VALU_DEP_1)
	v_fma_f64 v[60:61], v[92:93], v[252:253], -v[29:30]
	v_mul_f64_e32 v[29:30], v[92:93], v[254:255]
	v_fma_f64 v[102:103], v[94:95], v[252:253], v[29:30]
	s_wait_loadcnt 0x0
	v_mul_f64_e32 v[29:30], v[26:27], v[2:3]
	s_delay_alu instid0(VALU_DEP_1) | instskip(SKIP_1) | instid1(VALU_DEP_2)
	v_fma_f64 v[64:65], v[24:25], v[0:1], -v[29:30]
	v_mul_f64_e32 v[24:25], v[24:25], v[2:3]
	v_add_f64_e32 v[104:105], v[60:61], v[64:65]
	s_delay_alu instid0(VALU_DEP_2) | instskip(SKIP_1) | instid1(VALU_DEP_1)
	v_fma_f64 v[62:63], v[26:27], v[0:1], v[24:25]
	v_add_nc_u32_e32 v24, -9, v96
	v_cndmask_b32_e32 v24, v24, v28, vcc_lo
	s_delay_alu instid0(VALU_DEP_1) | instskip(SKIP_1) | instid1(VALU_DEP_2)
	v_mul_i32_i24_e32 v25, 0x60, v24
	v_mul_hi_i32_i24_e32 v24, 0x60, v24
	v_add_co_u32 v28, s0, s10, v25
	s_wait_alu 0xf1ff
	s_delay_alu instid0(VALU_DEP_2)
	v_add_co_ci_u32_e64 v29, s0, s11, v24, s0
	s_clause 0x1
	global_load_b128 v[50:53], v[28:29], off offset:2112
	global_load_b128 v[54:57], v[28:29], off offset:2128
	s_mov_b32 s10, 0x429ad128
	s_mov_b32 s11, 0x3febfeb5
	;; [unrolled: 1-line block ×4, first 2 shown]
	v_add_f64_e32 v[116:117], v[102:103], v[62:63]
	v_add_f64_e64 v[48:49], v[62:63], -v[102:103]
	s_delay_alu instid0(VALU_DEP_1)
	v_add_f64_e32 v[62:63], v[48:49], v[40:41]
	s_wait_loadcnt 0x1
	scratch_store_b128 off, v[50:53], off offset:592 ; 16-byte Folded Spill
	s_wait_loadcnt 0x0
	scratch_store_b128 off, v[54:57], off offset:608 ; 16-byte Folded Spill
	s_clause 0x1
	global_load_b128 v[82:85], v[28:29], off offset:2192
	global_load_b128 v[94:97], v[28:29], off offset:2176
	v_mul_f64_e32 v[24:25], v[114:115], v[52:53]
	v_mul_f64_e32 v[30:31], v[122:123], v[56:57]
	s_delay_alu instid0(VALU_DEP_2) | instskip(SKIP_1) | instid1(VALU_DEP_3)
	v_fma_f64 v[26:27], v[112:113], v[50:51], -v[24:25]
	v_mul_f64_e32 v[24:25], v[112:113], v[52:53]
	v_fma_f64 v[52:53], v[120:121], v[54:55], -v[30:31]
	v_mul_f64_e32 v[30:31], v[120:121], v[56:57]
	v_add_f64_e32 v[112:113], v[66:67], v[74:75]
	v_add_f64_e32 v[120:121], v[142:143], v[88:89]
	v_fma_f64 v[24:25], v[114:115], v[50:51], v[24:25]
	v_add_f64_e32 v[114:115], v[70:71], v[78:79]
	v_fma_f64 v[50:51], v[122:123], v[54:55], v[30:31]
	s_wait_loadcnt 0x1
	v_mul_f64_e32 v[30:31], v[138:139], v[84:85]
	scratch_store_b128 off, v[82:85], off offset:624 ; 16-byte Folded Spill
	s_wait_loadcnt 0x0
	scratch_store_b128 off, v[94:97], off offset:640 ; 16-byte Folded Spill
	v_fma_f64 v[56:57], v[136:137], v[82:83], -v[30:31]
	v_mul_f64_e32 v[30:31], v[136:137], v[84:85]
	v_add_f64_e32 v[136:137], v[86:87], v[90:91]
	s_delay_alu instid0(VALU_DEP_3) | instskip(NEXT) | instid1(VALU_DEP_3)
	v_add_f64_e32 v[124:125], v[26:27], v[56:57]
	v_fma_f64 v[54:55], v[138:139], v[82:83], v[30:31]
	v_mul_f64_e32 v[30:31], v[130:131], v[96:97]
	v_add_f64_e64 v[26:27], v[26:27], -v[56:57]
	s_delay_alu instid0(VALU_DEP_2)
	v_fma_f64 v[92:93], v[128:129], v[94:95], -v[30:31]
	v_mul_f64_e32 v[30:31], v[128:129], v[96:97]
	s_clause 0x1
	global_load_b128 v[82:85], v[28:29], off offset:2144
	global_load_b128 v[96:99], v[28:29], off offset:2160
	v_add_f64_e32 v[128:129], v[68:69], v[76:77]
	v_add_f64_e64 v[76:77], v[68:69], -v[76:77]
	v_add_f64_e32 v[126:127], v[52:53], v[92:93]
	v_fma_f64 v[58:59], v[130:131], v[94:95], v[30:31]
	v_add_f64_e32 v[130:131], v[72:73], v[80:81]
	v_add_f64_e64 v[52:53], v[52:53], -v[92:93]
	s_wait_loadcnt 0x1
	v_mul_f64_e32 v[28:29], v[18:19], v[84:85]
	scratch_store_b128 off, v[82:85], off offset:656 ; 16-byte Folded Spill
	s_wait_loadcnt 0x0
	scratch_store_b128 off, v[96:99], off offset:672 ; 16-byte Folded Spill
	v_fma_f64 v[94:95], v[16:17], v[82:83], -v[28:29]
	v_mul_f64_e32 v[16:17], v[16:17], v[84:85]
	v_add_f64_e32 v[84:85], v[50:51], v[58:59]
	v_add_f64_e64 v[50:51], v[50:51], -v[58:59]
	s_delay_alu instid0(VALU_DEP_3) | instskip(SKIP_2) | instid1(VALU_DEP_2)
	v_fma_f64 v[16:17], v[18:19], v[82:83], v[16:17]
	v_mul_f64_e32 v[18:19], v[22:23], v[98:99]
	v_add_f64_e32 v[82:83], v[24:25], v[54:55]
	v_fma_f64 v[100:101], v[20:21], v[96:97], -v[18:19]
	v_mul_f64_e32 v[18:19], v[20:21], v[98:99]
	v_add_f64_e32 v[20:21], v[114:115], v[112:113]
	v_add_f64_e32 v[98:99], v[38:39], v[46:47]
	v_add_f64_e64 v[38:39], v[38:39], -v[46:47]
	v_add_f64_e64 v[46:47], v[64:65], -v[60:61]
	;; [unrolled: 1-line block ×5, first 2 shown]
	v_add_f64_e32 v[132:133], v[94:95], v[100:101]
	v_fma_f64 v[18:19], v[22:23], v[96:97], v[18:19]
	v_add_f64_e32 v[122:123], v[120:121], v[20:21]
	v_add_f64_e32 v[20:21], v[130:131], v[128:129]
	v_add_f64_e32 v[96:97], v[34:35], v[42:43]
	v_add_f64_e64 v[34:35], v[34:35], -v[42:43]
	v_add_f64_e64 v[44:45], v[46:47], -v[38:39]
	v_add_f64_e32 v[42:43], v[46:47], v[38:39]
	v_add_f64_e32 v[144:145], v[16:17], v[18:19]
	v_add_f64_e64 v[16:17], v[18:19], -v[16:17]
	v_add_f64_e32 v[138:139], v[136:137], v[20:21]
	v_add_f64_e32 v[20:21], v[12:13], v[122:123]
	;; [unrolled: 1-line block ×3, first 2 shown]
	v_add_f64_e64 v[38:39], v[38:39], -v[34:35]
	v_mul_f64_e32 v[102:103], s[16:17], v[44:45]
	v_add_f64_e64 v[64:65], v[98:99], -v[96:97]
	v_add_f64_e64 v[96:97], v[96:97], -v[104:105]
	v_add_f64_e64 v[18:19], v[24:25], -v[54:55]
	v_add_f64_e64 v[54:55], v[132:133], -v[126:127]
	v_add_f64_e64 v[24:25], v[126:127], -v[124:125]
	v_add_f64_e64 v[58:59], v[144:145], -v[84:85]
	v_add_f64_e32 v[22:23], v[14:15], v[138:139]
	v_fma_f64 v[122:123], v[122:123], s[12:13], v[20:21]
	v_add_f64_e32 v[106:107], v[104:105], v[12:13]
	v_add_f64_e32 v[12:13], v[110:111], v[108:109]
	v_mul_f64_e32 v[96:97], s[22:23], v[96:97]
	s_wait_alu 0xf1fe
	v_mul_f64_e32 v[92:93], s[0:1], v[54:55]
	v_fma_f64 v[138:139], v[138:139], s[12:13], v[22:23]
	s_delay_alu instid0(VALU_DEP_4) | instskip(SKIP_3) | instid1(VALU_DEP_4)
	v_add_f64_e32 v[118:119], v[116:117], v[12:13]
	v_add_f64_e32 v[12:13], v[8:9], v[106:107]
	;; [unrolled: 1-line block ×3, first 2 shown]
	v_fma_f64 v[92:93], v[24:25], s[14:15], -v[92:93]
	v_add_f64_e32 v[14:15], v[10:11], v[118:119]
	v_add_f64_e64 v[10:11], v[66:67], -v[74:75]
	s_delay_alu instid0(VALU_DEP_4)
	v_add_f64_e32 v[134:135], v[132:133], v[8:9]
	v_add_f64_e32 v[8:9], v[84:85], v[82:83]
	v_add_f64_e64 v[74:75], v[90:91], -v[86:87]
	v_add_f64_e64 v[86:87], v[120:121], -v[114:115]
	v_fma_f64 v[106:107], v[106:107], s[12:13], v[12:13]
	v_add_f64_e64 v[82:83], v[82:83], -v[144:145]
	v_add_f64_e32 v[28:29], v[4:5], v[134:135]
	v_add_f64_e32 v[146:147], v[144:145], v[8:9]
	v_add_f64_e64 v[4:5], v[70:71], -v[78:79]
	v_add_f64_e64 v[8:9], v[72:73], -v[80:81]
	;; [unrolled: 1-line block ×6, first 2 shown]
	v_add_f64_e32 v[30:31], v[6:7], v[146:147]
	v_add_f64_e64 v[6:7], v[88:89], -v[142:143]
	v_add_f64_e64 v[70:71], v[74:75], -v[8:9]
	;; [unrolled: 1-line block ×3, first 2 shown]
	v_add_f64_e32 v[72:73], v[74:75], v[8:9]
	v_add_f64_e64 v[8:9], v[8:9], -v[76:77]
	v_mul_f64_e32 v[112:113], s[22:23], v[112:113]
	v_mul_f64_e32 v[120:121], s[22:23], v[120:121]
	v_add_f64_e64 v[68:69], v[6:7], -v[4:5]
	v_add_f64_e32 v[66:67], v[6:7], v[4:5]
	v_add_f64_e64 v[4:5], v[4:5], -v[10:11]
	v_mul_f64_e32 v[114:115], s[16:17], v[70:71]
	v_add_f64_e32 v[142:143], v[72:73], v[76:77]
	v_add_f64_e64 v[6:7], v[10:11], -v[6:7]
	v_mul_f64_e32 v[90:91], s[16:17], v[68:69]
	;; [unrolled: 3-line block ×3, first 2 shown]
	v_mul_f64_e32 v[68:69], s[0:1], v[88:89]
	v_fma_f64 v[74:75], v[78:79], s[24:25], -v[112:113]
	v_fma_f64 v[76:77], v[80:81], s[24:25], -v[120:121]
	;; [unrolled: 1-line block ×3, first 2 shown]
	v_mul_f64_e32 v[4:5], s[10:11], v[4:5]
	v_fma_f64 v[66:67], v[78:79], s[14:15], -v[66:67]
	v_fma_f64 v[68:69], v[80:81], s[14:15], -v[68:69]
	v_add_f64_e32 v[78:79], v[74:75], v[122:123]
	v_add_f64_e32 v[80:81], v[76:77], v[138:139]
	v_fma_f64 v[72:73], v[130:131], s[18:19], v[70:71]
	v_fma_f64 v[70:71], v[8:9], s[10:11], -v[114:115]
	v_mul_f64_e32 v[8:9], s[10:11], v[8:9]
	v_fma_f64 v[4:5], v[6:7], s[26:27], -v[4:5]
	v_add_f64_e32 v[150:151], v[68:69], v[138:139]
	v_add_f64_e32 v[148:149], v[66:67], v[122:123]
	v_fma_f64 v[70:71], v[142:143], s[18:19], v[70:71]
	v_fma_f64 v[8:9], v[10:11], s[26:27], -v[8:9]
	v_fma_f64 v[4:5], v[130:131], s[18:19], v[4:5]
	v_add_f64_e32 v[68:69], v[72:73], v[150:151]
	v_add_f64_e64 v[72:73], v[150:151], -v[72:73]
	v_add_f64_e64 v[66:67], v[148:149], -v[70:71]
	v_fma_f64 v[8:9], v[142:143], s[18:19], v[8:9]
	v_add_f64_e64 v[76:77], v[80:81], -v[4:5]
	v_add_f64_e32 v[80:81], v[4:5], v[80:81]
	v_fma_f64 v[4:5], v[6:7], s[20:21], v[90:91]
	v_fma_f64 v[6:7], v[10:11], s[20:21], v[114:115]
	;; [unrolled: 1-line block ×3, first 2 shown]
	v_add_f64_e64 v[90:91], v[116:117], -v[110:111]
	v_fma_f64 v[114:115], v[118:119], s[12:13], v[14:15]
	v_add_f64_e32 v[70:71], v[70:71], v[148:149]
	v_add_f64_e32 v[74:75], v[8:9], v[78:79]
	v_add_f64_e64 v[78:79], v[78:79], -v[8:9]
	v_fma_f64 v[8:9], v[86:87], s[0:1], v[112:113]
	v_fma_f64 v[86:87], v[130:131], s[18:19], v[4:5]
	;; [unrolled: 1-line block ×3, first 2 shown]
	v_add_f64_e32 v[10:11], v[10:11], v[138:139]
	v_add_f64_e32 v[112:113], v[62:63], v[36:37]
	v_add_f64_e64 v[36:37], v[36:37], -v[48:49]
	v_mul_f64_e32 v[44:45], s[0:1], v[90:91]
	v_add_f64_e32 v[8:9], v[8:9], v[122:123]
	v_add_f64_e64 v[6:7], v[10:11], -v[86:87]
	v_add_f64_e32 v[10:11], v[86:87], v[10:11]
	v_add_f64_e64 v[86:87], v[104:105], -v[98:99]
	;; [unrolled: 2-line block ×3, first 2 shown]
	v_add_f64_e64 v[34:35], v[34:35], -v[46:47]
	v_fma_f64 v[46:47], v[64:65], s[24:25], -v[96:97]
	v_add_f64_e32 v[4:5], v[88:89], v[8:9]
	v_add_f64_e64 v[8:9], v[8:9], -v[88:89]
	v_add_f64_e64 v[88:89], v[110:111], -v[108:109]
	v_mul_f64_e32 v[110:111], s[16:17], v[60:61]
	v_fma_f64 v[60:61], v[38:39], s[10:11], -v[102:103]
	v_mul_f64_e32 v[38:39], s[10:11], v[38:39]
	v_mul_f64_e32 v[42:43], s[0:1], v[86:87]
	;; [unrolled: 1-line block ×3, first 2 shown]
	v_fma_f64 v[44:45], v[88:89], s[14:15], -v[44:45]
	v_fma_f64 v[118:119], v[98:99], s[18:19], v[60:61]
	v_fma_f64 v[60:61], v[40:41], s[10:11], -v[110:111]
	v_mul_f64_e32 v[40:41], s[10:11], v[40:41]
	v_fma_f64 v[38:39], v[34:35], s[26:27], -v[38:39]
	v_fma_f64 v[48:49], v[88:89], s[24:25], -v[104:105]
	;; [unrolled: 1-line block ×3, first 2 shown]
	v_fma_f64 v[34:35], v[34:35], s[20:21], v[102:103]
	v_add_f64_e32 v[44:45], v[44:45], v[114:115]
	v_fma_f64 v[120:121], v[112:113], s[18:19], v[60:61]
	v_fma_f64 v[40:41], v[36:37], s[26:27], -v[40:41]
	v_fma_f64 v[64:65], v[98:99], s[18:19], v[38:39]
	v_add_f64_e32 v[88:89], v[48:49], v[114:115]
	v_fma_f64 v[36:37], v[36:37], s[20:21], v[110:111]
	v_add_f64_e32 v[42:43], v[42:43], v[106:107]
	v_add_f64_e32 v[62:63], v[118:119], v[44:45]
	v_add_f64_e64 v[44:45], v[44:45], -v[118:119]
	v_fma_f64 v[38:39], v[112:113], s[18:19], v[40:41]
	v_add_f64_e32 v[40:41], v[46:47], v[106:107]
	v_add_f64_e64 v[48:49], v[88:89], -v[64:65]
	v_add_f64_e64 v[60:61], v[42:43], -v[120:121]
	v_add_f64_e32 v[42:43], v[120:121], v[42:43]
	s_delay_alu instid0(VALU_DEP_4)
	v_add_f64_e32 v[46:47], v[38:39], v[40:41]
	v_add_f64_e64 v[38:39], v[40:41], -v[38:39]
	v_add_f64_e32 v[40:41], v[64:65], v[88:89]
	v_fma_f64 v[64:65], v[86:87], s[0:1], v[96:97]
	v_fma_f64 v[86:87], v[90:91], s[0:1], v[104:105]
	;; [unrolled: 1-line block ×6, first 2 shown]
	v_add_f64_e32 v[64:65], v[64:65], v[106:107]
	v_add_f64_e32 v[86:87], v[86:87], v[114:115]
	s_delay_alu instid0(VALU_DEP_4) | instskip(NEXT) | instid1(VALU_DEP_3)
	v_add_f64_e32 v[92:93], v[92:93], v[96:97]
	v_add_f64_e32 v[34:35], v[90:91], v[64:65]
	v_add_f64_e64 v[112:113], v[64:65], -v[90:91]
	v_add_f64_e64 v[90:91], v[16:17], -v[50:51]
	;; [unrolled: 1-line block ×3, first 2 shown]
	v_add_f64_e32 v[114:115], v[88:89], v[86:87]
	v_add_f64_e32 v[88:89], v[16:17], v[50:51]
	v_add_f64_e64 v[50:51], v[50:51], -v[18:19]
	v_add_f64_e64 v[64:65], v[100:101], -v[94:95]
	v_mul_f64_e32 v[94:95], s[0:1], v[58:59]
	v_add_f64_e64 v[16:17], v[18:19], -v[16:17]
	ds_store_b128 v140, v[20:23]
	ds_store_b128 v140, v[12:15] offset:1008
	ds_store_b128 v140, v[4:7] offset:2160
	ds_store_b128 v140, v[34:37] offset:3168
	ds_store_b128 v140, v[74:77] offset:4320
	ds_store_b128 v140, v[46:49] offset:5328
	ds_store_b128 v140, v[66:69] offset:6480
	ds_store_b128 v140, v[60:63] offset:7488
	ds_store_b128 v140, v[70:73] offset:8640
	ds_store_b128 v140, v[42:45] offset:9648
	ds_store_b128 v140, v[78:81] offset:10800
	ds_store_b128 v140, v[38:41] offset:11808
	ds_store_b128 v140, v[8:11] offset:12960
	ds_store_b128 v140, v[112:115] offset:13968
	v_mul_f64_e32 v[90:91], s[16:17], v[90:91]
	v_add_f64_e32 v[88:89], v[88:89], v[18:19]
	v_add_f64_e64 v[86:87], v[64:65], -v[52:53]
	v_add_f64_e32 v[84:85], v[64:65], v[52:53]
	v_add_f64_e64 v[52:53], v[52:53], -v[26:27]
	v_fma_f64 v[94:95], v[56:57], s[14:15], -v[94:95]
	v_fma_f64 v[102:103], v[50:51], s[10:11], -v[90:91]
	v_mul_f64_e32 v[50:51], s[10:11], v[50:51]
	v_mul_f64_e32 v[86:87], s[16:17], v[86:87]
	v_add_f64_e32 v[84:85], v[84:85], v[26:27]
	v_add_f64_e64 v[26:27], v[26:27], -v[64:65]
	v_mul_f64_e32 v[18:19], s[10:11], v[52:53]
	v_mul_f64_e32 v[64:65], s[22:23], v[82:83]
	v_add_f64_e32 v[94:95], v[94:95], v[98:99]
	v_fma_f64 v[102:103], v[88:89], s[18:19], v[102:103]
	v_fma_f64 v[50:51], v[16:17], s[26:27], -v[50:51]
	v_fma_f64 v[16:17], v[16:17], s[20:21], v[90:91]
	v_fma_f64 v[100:101], v[52:53], s[10:11], -v[86:87]
	v_fma_f64 v[18:19], v[26:27], s[26:27], -v[18:19]
	;; [unrolled: 1-line block ×3, first 2 shown]
	v_add_f64_e64 v[128:129], v[92:93], -v[102:103]
	v_add_f64_e32 v[136:137], v[102:103], v[92:93]
	v_add_f64_e64 v[92:93], v[124:125], -v[132:133]
	v_fma_f64 v[50:51], v[88:89], s[18:19], v[50:51]
	v_fma_f64 v[16:17], v[88:89], s[18:19], v[16:17]
	;; [unrolled: 1-line block ×4, first 2 shown]
	v_add_f64_e32 v[56:57], v[56:57], v[98:99]
	v_mul_f64_e32 v[52:53], s[22:23], v[92:93]
	s_delay_alu instid0(VALU_DEP_4) | instskip(SKIP_1) | instid1(VALU_DEP_4)
	v_add_f64_e32 v[130:131], v[100:101], v[94:95]
	v_add_f64_e64 v[138:139], v[94:95], -v[100:101]
	v_add_f64_e64 v[144:145], v[56:57], -v[18:19]
	v_add_f64_e32 v[102:103], v[18:19], v[56:57]
	v_fma_f64 v[18:19], v[26:27], s[20:21], v[86:87]
	v_fma_f64 v[26:27], v[58:59], s[0:1], v[64:65]
	v_fma_f64 v[24:25], v[24:25], s[24:25], -v[52:53]
	s_delay_alu instid0(VALU_DEP_3) | instskip(NEXT) | instid1(VALU_DEP_3)
	v_fma_f64 v[18:19], v[84:85], s[18:19], v[18:19]
	v_add_f64_e32 v[26:27], v[26:27], v[98:99]
	s_delay_alu instid0(VALU_DEP_3) | instskip(NEXT) | instid1(VALU_DEP_2)
	v_add_f64_e32 v[24:25], v[24:25], v[96:97]
	v_add_f64_e64 v[148:149], v[26:27], -v[18:19]
	v_add_f64_e32 v[26:27], v[18:19], v[26:27]
	s_delay_alu instid0(VALU_DEP_3) | instskip(SKIP_2) | instid1(VALU_DEP_1)
	v_add_f64_e32 v[142:143], v[50:51], v[24:25]
	v_add_f64_e64 v[100:101], v[24:25], -v[50:51]
	v_fma_f64 v[24:25], v[54:55], s[0:1], v[52:53]
	v_add_f64_e32 v[24:25], v[24:25], v[96:97]
	s_delay_alu instid0(VALU_DEP_1)
	v_add_f64_e32 v[146:147], v[16:17], v[24:25]
	v_add_f64_e64 v[24:25], v[24:25], -v[16:17]
	s_and_saveexec_b32 s0, vcc_lo
	s_cbranch_execz .LBB0_5
; %bb.4:
	ds_store_b128 v140, v[28:31] offset:2016
	ds_store_b128 v140, v[146:149] offset:4176
	;; [unrolled: 1-line block ×7, first 2 shown]
.LBB0_5:
	s_wait_alu 0xfffe
	s_or_b32 exec_lo, exec_lo, s0
	global_wb scope:SCOPE_SE
	s_wait_storecnt_dscnt 0x0
	s_barrier_signal -1
	s_barrier_wait -1
	global_inv scope:SCOPE_SE
	global_load_b128 v[4:7], v[32:33], off offset:15120
	ds_load_b128 v[8:11], v140
	ds_load_b128 v[12:15], v140 offset:1008
	scratch_load_b32 v120, off, off offset:8 ; 4-byte Folded Reload
	s_add_nc_u64 s[0:1], s[8:9], 0x3b10
	s_mov_b32 s9, 0x3febb67a
	s_mov_b32 s10, 0x134454ff
	;; [unrolled: 1-line block ×4, first 2 shown]
	s_wait_alu 0xfffe
	s_mov_b32 s12, s10
	s_mov_b32 s14, 0x372fe950
	;; [unrolled: 1-line block ×3, first 2 shown]
	s_wait_loadcnt_dscnt 0x101
	v_mul_f64_e32 v[16:17], v[10:11], v[6:7]
	v_mul_f64_e32 v[18:19], v[8:9], v[6:7]
	s_delay_alu instid0(VALU_DEP_2) | instskip(NEXT) | instid1(VALU_DEP_2)
	v_fma_f64 v[6:7], v[8:9], v[4:5], -v[16:17]
	v_fma_f64 v[8:9], v[10:11], v[4:5], v[18:19]
	s_wait_loadcnt 0x0
	v_lshlrev_b32_e32 v18, 4, v120
	global_load_b128 v[20:23], v18, s[0:1] offset:5040
	ds_load_b128 v[28:31], v140 offset:5040
	ds_load_b128 v[32:35], v140 offset:4032
	global_load_b128 v[36:39], v18, s[0:1] offset:6048
	s_wait_loadcnt_dscnt 0x101
	v_mul_f64_e32 v[4:5], v[30:31], v[22:23]
	v_mul_f64_e32 v[10:11], v[28:29], v[22:23]
	s_delay_alu instid0(VALU_DEP_2) | instskip(NEXT) | instid1(VALU_DEP_2)
	v_fma_f64 v[28:29], v[28:29], v[20:21], -v[4:5]
	v_fma_f64 v[30:31], v[30:31], v[20:21], v[10:11]
	global_load_b128 v[20:23], v18, s[0:1] offset:10080
	ds_load_b128 v[40:43], v140 offset:10080
	ds_load_b128 v[44:47], v140 offset:11088
	global_load_b128 v[58:61], v18, s[0:1] offset:9072
	s_wait_loadcnt_dscnt 0x101
	v_mul_f64_e32 v[4:5], v[42:43], v[22:23]
	v_mul_f64_e32 v[10:11], v[40:41], v[22:23]
	s_delay_alu instid0(VALU_DEP_2) | instskip(NEXT) | instid1(VALU_DEP_2)
	v_fma_f64 v[40:41], v[40:41], v[20:21], -v[4:5]
	v_fma_f64 v[42:43], v[42:43], v[20:21], v[10:11]
	s_clause 0x1
	global_load_b128 v[20:23], v18, s[0:1] offset:1008
	global_load_b128 v[62:65], v18, s[0:1] offset:2016
	s_wait_loadcnt 0x1
	v_mul_f64_e32 v[4:5], v[14:15], v[22:23]
	v_mul_f64_e32 v[16:17], v[12:13], v[22:23]
	s_delay_alu instid0(VALU_DEP_2) | instskip(NEXT) | instid1(VALU_DEP_2)
	v_fma_f64 v[10:11], v[12:13], v[20:21], -v[4:5]
	v_fma_f64 v[12:13], v[14:15], v[20:21], v[16:17]
	ds_load_b128 v[20:23], v140 offset:6048
	ds_load_b128 v[66:69], v140 offset:7056
	s_wait_dscnt 0x1
	v_mul_f64_e32 v[4:5], v[22:23], v[38:39]
	v_mul_f64_e32 v[14:15], v[20:21], v[38:39]
	s_delay_alu instid0(VALU_DEP_2) | instskip(NEXT) | instid1(VALU_DEP_2)
	v_fma_f64 v[20:21], v[20:21], v[36:37], -v[4:5]
	v_fma_f64 v[22:23], v[22:23], v[36:37], v[14:15]
	s_clause 0x1
	global_load_b128 v[36:39], v18, s[0:1] offset:11088
	global_load_b128 v[70:73], v18, s[0:1] offset:12096
	s_wait_loadcnt 0x1
	v_mul_f64_e32 v[4:5], v[46:47], v[38:39]
	v_mul_f64_e32 v[14:15], v[44:45], v[38:39]
	s_delay_alu instid0(VALU_DEP_2) | instskip(NEXT) | instid1(VALU_DEP_2)
	v_fma_f64 v[44:45], v[44:45], v[36:37], -v[4:5]
	v_fma_f64 v[46:47], v[46:47], v[36:37], v[14:15]
	ds_load_b128 v[36:39], v140 offset:2016
	ds_load_b128 v[74:77], v140 offset:3024
	s_wait_dscnt 0x1
	v_mul_f64_e32 v[4:5], v[38:39], v[64:65]
	v_mul_f64_e32 v[14:15], v[36:37], v[64:65]
	s_delay_alu instid0(VALU_DEP_2) | instskip(NEXT) | instid1(VALU_DEP_2)
	v_fma_f64 v[36:37], v[36:37], v[62:63], -v[4:5]
	v_fma_f64 v[38:39], v[38:39], v[62:63], v[14:15]
	s_clause 0x1
	global_load_b128 v[62:65], v18, s[0:1] offset:7056
	global_load_b128 v[78:81], v18, s[0:1] offset:8064
	ds_load_b128 v[112:115], v140 offset:12096
	ds_load_b128 v[48:51], v140 offset:13104
	s_wait_loadcnt 0x1
	v_mul_f64_e32 v[4:5], v[68:69], v[64:65]
	v_mul_f64_e32 v[14:15], v[66:67], v[64:65]
	s_delay_alu instid0(VALU_DEP_2) | instskip(NEXT) | instid1(VALU_DEP_2)
	v_fma_f64 v[64:65], v[66:67], v[62:63], -v[4:5]
	v_fma_f64 v[66:67], v[68:69], v[62:63], v[14:15]
	s_wait_dscnt 0x1
	v_mul_f64_e32 v[4:5], v[114:115], v[72:73]
	v_mul_f64_e32 v[14:15], v[112:113], v[72:73]
	s_delay_alu instid0(VALU_DEP_2) | instskip(NEXT) | instid1(VALU_DEP_2)
	v_fma_f64 v[68:69], v[112:113], v[70:71], -v[4:5]
	v_fma_f64 v[70:71], v[114:115], v[70:71], v[14:15]
	s_clause 0x1
	global_load_b128 v[112:115], v18, s[0:1] offset:3024
	global_load_b128 v[52:55], v18, s[0:1] offset:4032
	s_wait_loadcnt 0x1
	v_mul_f64_e32 v[4:5], v[76:77], v[114:115]
	v_mul_f64_e32 v[14:15], v[74:75], v[114:115]
	s_delay_alu instid0(VALU_DEP_2) | instskip(NEXT) | instid1(VALU_DEP_2)
	v_fma_f64 v[72:73], v[74:75], v[112:113], -v[4:5]
	v_fma_f64 v[74:75], v[76:77], v[112:113], v[14:15]
	ds_load_b128 v[112:115], v140 offset:8064
	ds_load_b128 v[92:95], v140 offset:9072
	s_wait_dscnt 0x1
	v_mul_f64_e32 v[4:5], v[114:115], v[80:81]
	v_mul_f64_e32 v[14:15], v[112:113], v[80:81]
	s_delay_alu instid0(VALU_DEP_2) | instskip(NEXT) | instid1(VALU_DEP_2)
	v_fma_f64 v[76:77], v[112:113], v[78:79], -v[4:5]
	v_fma_f64 v[78:79], v[114:115], v[78:79], v[14:15]
	s_clause 0x1
	global_load_b128 v[112:115], v18, s[0:1] offset:13104
	global_load_b128 v[14:17], v18, s[0:1] offset:14112
	s_mov_b32 s0, 0xe8584caa
	s_mov_b32 s1, 0xbfebb67a
	s_wait_alu 0xfffe
	s_mov_b32 s8, s0
	s_wait_loadcnt 0x1
	v_mul_f64_e32 v[4:5], v[50:51], v[114:115]
	v_mul_f64_e32 v[18:19], v[48:49], v[114:115]
	s_delay_alu instid0(VALU_DEP_2) | instskip(NEXT) | instid1(VALU_DEP_2)
	v_fma_f64 v[48:49], v[48:49], v[112:113], -v[4:5]
	v_fma_f64 v[50:51], v[50:51], v[112:113], v[18:19]
	v_mul_f64_e32 v[4:5], v[34:35], v[54:55]
	v_mul_f64_e32 v[18:19], v[32:33], v[54:55]
	s_delay_alu instid0(VALU_DEP_2) | instskip(NEXT) | instid1(VALU_DEP_2)
	v_fma_f64 v[32:33], v[32:33], v[52:53], -v[4:5]
	v_fma_f64 v[34:35], v[34:35], v[52:53], v[18:19]
	s_wait_dscnt 0x0
	v_mul_f64_e32 v[4:5], v[94:95], v[60:61]
	v_mul_f64_e32 v[18:19], v[92:93], v[60:61]
	s_delay_alu instid0(VALU_DEP_2) | instskip(NEXT) | instid1(VALU_DEP_2)
	v_fma_f64 v[52:53], v[92:93], v[58:59], -v[4:5]
	v_fma_f64 v[54:55], v[94:95], v[58:59], v[18:19]
	ds_load_b128 v[56:59], v140 offset:14112
	s_wait_loadcnt_dscnt 0x0
	v_mul_f64_e32 v[4:5], v[58:59], v[16:17]
	v_mul_f64_e32 v[18:19], v[56:57], v[16:17]
	s_delay_alu instid0(VALU_DEP_2) | instskip(NEXT) | instid1(VALU_DEP_2)
	v_fma_f64 v[16:17], v[56:57], v[14:15], -v[4:5]
	v_fma_f64 v[18:19], v[58:59], v[14:15], v[18:19]
	ds_store_b128 v140, v[6:9]
	ds_store_b128 v140, v[10:13] offset:1008
	ds_store_b128 v140, v[40:43] offset:10080
	;; [unrolled: 1-line block ×14, first 2 shown]
	global_wb scope:SCOPE_SE
	s_wait_dscnt 0x0
	s_barrier_signal -1
	s_barrier_wait -1
	global_inv scope:SCOPE_SE
	ds_load_b128 v[4:7], v140 offset:5040
	ds_load_b128 v[8:11], v140
	ds_load_b128 v[12:15], v140 offset:1008
	ds_load_b128 v[16:19], v140 offset:4032
	;; [unrolled: 1-line block ×4, first 2 shown]
	s_wait_dscnt 0x4
	v_add_f64_e32 v[32:33], v[8:9], v[4:5]
	v_add_f64_e32 v[34:35], v[10:11], v[6:7]
	s_wait_dscnt 0x1
	v_add_f64_e32 v[52:53], v[4:5], v[20:21]
	v_add_f64_e32 v[54:55], v[6:7], v[22:23]
	v_add_f64_e64 v[56:57], v[6:7], -v[22:23]
	v_add_f64_e64 v[58:59], v[4:5], -v[20:21]
	v_add_f64_e32 v[4:5], v[32:33], v[20:21]
	v_add_f64_e32 v[6:7], v[34:35], v[22:23]
	ds_load_b128 v[20:23], v140 offset:6048
	ds_load_b128 v[32:35], v140 offset:7056
	s_wait_dscnt 0x1
	v_add_f64_e32 v[36:37], v[12:13], v[20:21]
	v_add_f64_e32 v[38:39], v[14:15], v[22:23]
	;; [unrolled: 1-line block ×4, first 2 shown]
	v_add_f64_e64 v[64:65], v[22:23], -v[30:31]
	v_add_f64_e64 v[66:67], v[20:21], -v[28:29]
	v_add_f64_e32 v[20:21], v[36:37], v[28:29]
	v_add_f64_e32 v[22:23], v[38:39], v[30:31]
	ds_load_b128 v[28:31], v140 offset:2016
	ds_load_b128 v[36:39], v140 offset:3024
	;; [unrolled: 1-line block ×4, first 2 shown]
	s_wait_dscnt 0x3
	v_add_f64_e32 v[48:49], v[28:29], v[32:33]
	v_add_f64_e32 v[50:51], v[30:31], v[34:35]
	s_wait_dscnt 0x1
	v_add_f64_e32 v[68:69], v[32:33], v[40:41]
	v_add_f64_e32 v[70:71], v[34:35], v[42:43]
	v_add_f64_e64 v[72:73], v[34:35], -v[42:43]
	v_add_f64_e64 v[74:75], v[32:33], -v[40:41]
	v_add_f64_e32 v[32:33], v[48:49], v[40:41]
	v_add_f64_e32 v[34:35], v[50:51], v[42:43]
	ds_load_b128 v[40:43], v140 offset:8064
	ds_load_b128 v[48:51], v140 offset:9072
	s_wait_dscnt 0x1
	v_add_f64_e32 v[76:77], v[36:37], v[40:41]
	v_add_f64_e32 v[78:79], v[38:39], v[42:43]
	;; [unrolled: 1-line block ×4, first 2 shown]
	v_add_f64_e64 v[84:85], v[42:43], -v[46:47]
	v_add_f64_e64 v[86:87], v[40:41], -v[44:45]
	v_add_f64_e32 v[40:41], v[76:77], v[44:45]
	v_add_f64_e32 v[42:43], v[78:79], v[46:47]
	ds_load_b128 v[44:47], v140 offset:14112
	s_wait_dscnt 0x1
	v_add_f64_e32 v[76:77], v[16:17], v[48:49]
	global_wb scope:SCOPE_SE
	s_wait_dscnt 0x0
	s_barrier_signal -1
	s_barrier_wait -1
	global_inv scope:SCOPE_SE
	v_add_f64_e32 v[78:79], v[18:19], v[50:51]
	v_add_f64_e32 v[88:89], v[48:49], v[44:45]
	v_add_f64_e64 v[94:95], v[48:49], -v[44:45]
	v_fma_f64 v[48:49], v[52:53], -0.5, v[8:9]
	scratch_load_b32 v52, off, off offset:360 th:TH_LOAD_LU ; 4-byte Folded Reload
	v_add_f64_e32 v[90:91], v[50:51], v[46:47]
	v_add_f64_e64 v[92:93], v[50:51], -v[46:47]
	v_fma_f64 v[50:51], v[54:55], -0.5, v[10:11]
	v_add_f64_e32 v[44:45], v[76:77], v[44:45]
	v_add_f64_e32 v[46:47], v[78:79], v[46:47]
	v_fma_f64 v[8:9], v[56:57], s[0:1], v[48:49]
	s_wait_alu 0xfffe
	v_fma_f64 v[48:49], v[56:57], s[8:9], v[48:49]
	v_fma_f64 v[10:11], v[58:59], s[8:9], v[50:51]
	;; [unrolled: 1-line block ×3, first 2 shown]
	s_wait_loadcnt 0x0
	ds_store_b128 v52, v[4:7]
	ds_store_b128 v52, v[8:11] offset:16
	ds_store_b128 v52, v[48:51] offset:32
	v_fma_f64 v[6:7], v[60:61], -0.5, v[12:13]
	scratch_load_b32 v12, off, off offset:364 th:TH_LOAD_LU ; 4-byte Folded Reload
	v_fma_f64 v[10:11], v[62:63], -0.5, v[14:15]
	v_fma_f64 v[4:5], v[64:65], s[0:1], v[6:7]
	v_fma_f64 v[8:9], v[64:65], s[8:9], v[6:7]
	s_delay_alu instid0(VALU_DEP_3)
	v_fma_f64 v[6:7], v[66:67], s[8:9], v[10:11]
	v_fma_f64 v[10:11], v[66:67], s[0:1], v[10:11]
	s_wait_loadcnt 0x0
	ds_store_b128 v12, v[20:23]
	ds_store_b128 v12, v[4:7] offset:16
	ds_store_b128 v12, v[8:11] offset:32
	scratch_load_b32 v12, off, off offset:356 th:TH_LOAD_LU ; 4-byte Folded Reload
	v_fma_f64 v[6:7], v[68:69], -0.5, v[28:29]
	v_fma_f64 v[10:11], v[70:71], -0.5, v[30:31]
	s_delay_alu instid0(VALU_DEP_2) | instskip(SKIP_1) | instid1(VALU_DEP_3)
	v_fma_f64 v[4:5], v[72:73], s[0:1], v[6:7]
	v_fma_f64 v[8:9], v[72:73], s[8:9], v[6:7]
	v_fma_f64 v[6:7], v[74:75], s[8:9], v[10:11]
	v_fma_f64 v[10:11], v[74:75], s[0:1], v[10:11]
	s_wait_loadcnt 0x0
	ds_store_b128 v12, v[32:35]
	ds_store_b128 v12, v[4:7] offset:16
	ds_store_b128 v12, v[8:11] offset:32
	scratch_load_b32 v12, off, off offset:336 th:TH_LOAD_LU ; 4-byte Folded Reload
	v_fma_f64 v[6:7], v[80:81], -0.5, v[36:37]
	v_fma_f64 v[10:11], v[82:83], -0.5, v[38:39]
	s_delay_alu instid0(VALU_DEP_2) | instskip(SKIP_1) | instid1(VALU_DEP_3)
	v_fma_f64 v[4:5], v[84:85], s[0:1], v[6:7]
	v_fma_f64 v[8:9], v[84:85], s[8:9], v[6:7]
	;; [unrolled: 12-line block ×3, first 2 shown]
	v_fma_f64 v[6:7], v[94:95], s[8:9], v[10:11]
	v_fma_f64 v[10:11], v[94:95], s[0:1], v[10:11]
	s_wait_loadcnt 0x0
	ds_store_b128 v12, v[44:47]
	ds_store_b128 v12, v[4:7] offset:16
	ds_store_b128 v12, v[8:11] offset:32
	global_wb scope:SCOPE_SE
	s_wait_dscnt 0x0
	s_barrier_signal -1
	s_barrier_wait -1
	global_inv scope:SCOPE_SE
	ds_load_b128 v[4:7], v140 offset:5040
	ds_load_b128 v[8:11], v140 offset:4032
	scratch_load_b128 v[14:17], off, off offset:252 th:TH_LOAD_LU ; 16-byte Folded Reload
	s_wait_loadcnt_dscnt 0x1
	v_mul_f64_e32 v[12:13], v[16:17], v[6:7]
	s_delay_alu instid0(VALU_DEP_1) | instskip(SKIP_1) | instid1(VALU_DEP_1)
	v_fma_f64 v[20:21], v[14:15], v[4:5], v[12:13]
	v_mul_f64_e32 v[4:5], v[16:17], v[4:5]
	v_fma_f64 v[22:23], v[14:15], v[6:7], -v[4:5]
	ds_load_b128 v[4:7], v140 offset:10080
	ds_load_b128 v[12:15], v140 offset:11088
	scratch_load_b128 v[30:33], off, off offset:268 th:TH_LOAD_LU ; 16-byte Folded Reload
	s_wait_loadcnt_dscnt 0x1
	v_mul_f64_e32 v[16:17], v[32:33], v[6:7]
	s_delay_alu instid0(VALU_DEP_1) | instskip(SKIP_1) | instid1(VALU_DEP_1)
	v_fma_f64 v[28:29], v[30:31], v[4:5], v[16:17]
	v_mul_f64_e32 v[4:5], v[32:33], v[4:5]
	v_fma_f64 v[30:31], v[30:31], v[6:7], -v[4:5]
	ds_load_b128 v[4:7], v140 offset:6048
	ds_load_b128 v[16:19], v140 offset:7056
	scratch_load_b128 v[38:41], off, off offset:384 th:TH_LOAD_LU ; 16-byte Folded Reload
	s_wait_loadcnt_dscnt 0x1
	v_mul_f64_e32 v[32:33], v[40:41], v[6:7]
	s_delay_alu instid0(VALU_DEP_1) | instskip(SKIP_2) | instid1(VALU_DEP_1)
	v_fma_f64 v[36:37], v[38:39], v[4:5], v[32:33]
	scratch_load_b128 v[32:35], off, off offset:368 th:TH_LOAD_LU ; 16-byte Folded Reload
	v_mul_f64_e32 v[4:5], v[40:41], v[4:5]
	v_fma_f64 v[38:39], v[38:39], v[6:7], -v[4:5]
	s_wait_loadcnt 0x0
	v_mul_f64_e32 v[4:5], v[34:35], v[14:15]
	s_delay_alu instid0(VALU_DEP_1) | instskip(SKIP_1) | instid1(VALU_DEP_1)
	v_fma_f64 v[40:41], v[32:33], v[12:13], v[4:5]
	v_mul_f64_e32 v[4:5], v[34:35], v[12:13]
	v_fma_f64 v[42:43], v[32:33], v[14:15], -v[4:5]
	scratch_load_b128 v[12:15], off, off offset:416 th:TH_LOAD_LU ; 16-byte Folded Reload
	s_wait_loadcnt_dscnt 0x0
	v_mul_f64_e32 v[4:5], v[14:15], v[18:19]
	s_delay_alu instid0(VALU_DEP_1) | instskip(SKIP_1) | instid1(VALU_DEP_1)
	v_fma_f64 v[44:45], v[12:13], v[16:17], v[4:5]
	v_mul_f64_e32 v[4:5], v[14:15], v[16:17]
	v_fma_f64 v[46:47], v[12:13], v[18:19], -v[4:5]
	ds_load_b128 v[4:7], v140 offset:12096
	ds_load_b128 v[12:15], v140 offset:13104
	scratch_load_b128 v[32:35], off, off offset:400 th:TH_LOAD_LU ; 16-byte Folded Reload
	s_wait_loadcnt_dscnt 0x1
	v_mul_f64_e32 v[16:17], v[34:35], v[6:7]
	s_delay_alu instid0(VALU_DEP_1) | instskip(SKIP_1) | instid1(VALU_DEP_1)
	v_fma_f64 v[48:49], v[32:33], v[4:5], v[16:17]
	v_mul_f64_e32 v[4:5], v[34:35], v[4:5]
	v_fma_f64 v[50:51], v[32:33], v[6:7], -v[4:5]
	ds_load_b128 v[4:7], v140 offset:8064
	ds_load_b128 v[16:19], v140 offset:9072
	scratch_load_b128 v[54:57], off, off offset:452 th:TH_LOAD_LU ; 16-byte Folded Reload
	s_wait_loadcnt_dscnt 0x1
	v_mul_f64_e32 v[32:33], v[56:57], v[6:7]
	s_delay_alu instid0(VALU_DEP_1) | instskip(SKIP_2) | instid1(VALU_DEP_1)
	v_fma_f64 v[52:53], v[54:55], v[4:5], v[32:33]
	scratch_load_b128 v[32:35], off, off offset:436 th:TH_LOAD_LU ; 16-byte Folded Reload
	v_mul_f64_e32 v[4:5], v[56:57], v[4:5]
	v_fma_f64 v[54:55], v[54:55], v[6:7], -v[4:5]
	s_wait_loadcnt 0x0
	v_mul_f64_e32 v[4:5], v[34:35], v[14:15]
	s_delay_alu instid0(VALU_DEP_1) | instskip(SKIP_1) | instid1(VALU_DEP_1)
	v_fma_f64 v[56:57], v[32:33], v[12:13], v[4:5]
	v_mul_f64_e32 v[4:5], v[34:35], v[12:13]
	v_fma_f64 v[58:59], v[32:33], v[14:15], -v[4:5]
	scratch_load_b128 v[12:15], off, off offset:484 th:TH_LOAD_LU ; 16-byte Folded Reload
	s_wait_loadcnt_dscnt 0x0
	v_mul_f64_e32 v[4:5], v[14:15], v[18:19]
	s_delay_alu instid0(VALU_DEP_1)
	v_fma_f64 v[60:61], v[12:13], v[16:17], v[4:5]
	v_mul_f64_e32 v[4:5], v[14:15], v[16:17]
	scratch_load_b128 v[14:17], off, off offset:468 th:TH_LOAD_LU ; 16-byte Folded Reload
	v_fma_f64 v[62:63], v[12:13], v[18:19], -v[4:5]
	ds_load_b128 v[4:7], v140 offset:14112
	s_wait_loadcnt_dscnt 0x0
	v_mul_f64_e32 v[12:13], v[16:17], v[6:7]
	s_delay_alu instid0(VALU_DEP_1) | instskip(SKIP_2) | instid1(VALU_DEP_2)
	v_fma_f64 v[64:65], v[14:15], v[4:5], v[12:13]
	v_mul_f64_e32 v[4:5], v[16:17], v[4:5]
	v_add_f64_e32 v[16:17], v[20:21], v[28:29]
	v_fma_f64 v[66:67], v[14:15], v[6:7], -v[4:5]
	ds_load_b128 v[4:7], v140
	ds_load_b128 v[12:15], v140 offset:1008
	s_wait_dscnt 0x1
	v_fma_f64 v[18:19], v[16:17], -0.5, v[4:5]
	v_add_f64_e32 v[16:17], v[22:23], v[30:31]
	v_add_f64_e32 v[4:5], v[4:5], v[20:21]
	s_delay_alu instid0(VALU_DEP_2) | instskip(SKIP_2) | instid1(VALU_DEP_4)
	v_fma_f64 v[32:33], v[16:17], -0.5, v[6:7]
	v_add_f64_e32 v[6:7], v[6:7], v[22:23]
	v_add_f64_e64 v[22:23], v[22:23], -v[30:31]
	v_add_f64_e32 v[4:5], v[4:5], v[28:29]
	v_add_f64_e64 v[28:29], v[20:21], -v[28:29]
	s_delay_alu instid0(VALU_DEP_4) | instskip(NEXT) | instid1(VALU_DEP_4)
	v_add_f64_e32 v[6:7], v[6:7], v[30:31]
	v_fma_f64 v[16:17], v[22:23], s[0:1], v[18:19]
	v_fma_f64 v[20:21], v[22:23], s[8:9], v[18:19]
	s_delay_alu instid0(VALU_DEP_4)
	v_fma_f64 v[18:19], v[28:29], s[8:9], v[32:33]
	v_fma_f64 v[22:23], v[28:29], s[0:1], v[32:33]
	ds_load_b128 v[28:31], v140 offset:2016
	ds_load_b128 v[32:35], v140 offset:3024
	global_wb scope:SCOPE_SE
	s_wait_dscnt 0x0
	s_barrier_signal -1
	s_barrier_wait -1
	global_inv scope:SCOPE_SE
	scratch_load_b32 v68, off, off offset:564 th:TH_LOAD_LU ; 4-byte Folded Reload
	s_wait_loadcnt 0x0
	ds_store_b128 v68, v[4:7]
	ds_store_b128 v68, v[16:19] offset:48
	ds_store_b128 v68, v[20:23] offset:96
	v_add_f64_e32 v[4:5], v[36:37], v[40:41]
	v_add_f64_e64 v[20:21], v[36:37], -v[40:41]
	s_delay_alu instid0(VALU_DEP_2) | instskip(SKIP_2) | instid1(VALU_DEP_2)
	v_fma_f64 v[16:17], v[4:5], -0.5, v[12:13]
	v_add_f64_e32 v[4:5], v[38:39], v[42:43]
	v_add_f64_e32 v[12:13], v[12:13], v[36:37]
	v_fma_f64 v[18:19], v[4:5], -0.5, v[14:15]
	v_add_f64_e32 v[4:5], v[14:15], v[38:39]
	v_add_f64_e64 v[14:15], v[38:39], -v[42:43]
	s_delay_alu instid0(VALU_DEP_2) | instskip(SKIP_1) | instid1(VALU_DEP_3)
	v_add_f64_e32 v[6:7], v[4:5], v[42:43]
	v_add_f64_e32 v[4:5], v[12:13], v[40:41]
	v_fma_f64 v[12:13], v[14:15], s[0:1], v[16:17]
	v_fma_f64 v[16:17], v[14:15], s[8:9], v[16:17]
	;; [unrolled: 1-line block ×4, first 2 shown]
	scratch_load_b32 v20, off, off offset:560 th:TH_LOAD_LU ; 4-byte Folded Reload
	s_wait_loadcnt 0x0
	ds_store_b128 v20, v[4:7]
	ds_store_b128 v20, v[12:15] offset:48
	ds_store_b128 v20, v[16:19] offset:96
	v_add_f64_e32 v[4:5], v[44:45], v[48:49]
	v_add_f64_e32 v[12:13], v[28:29], v[44:45]
	v_add_f64_e64 v[16:17], v[46:47], -v[50:51]
	v_add_f64_e64 v[20:21], v[44:45], -v[48:49]
	s_delay_alu instid0(VALU_DEP_4) | instskip(SKIP_1) | instid1(VALU_DEP_1)
	v_fma_f64 v[14:15], v[4:5], -0.5, v[28:29]
	v_add_f64_e32 v[4:5], v[46:47], v[50:51]
	v_fma_f64 v[18:19], v[4:5], -0.5, v[30:31]
	v_add_f64_e32 v[4:5], v[30:31], v[46:47]
	s_delay_alu instid0(VALU_DEP_1)
	v_add_f64_e32 v[6:7], v[4:5], v[50:51]
	v_add_f64_e32 v[4:5], v[12:13], v[48:49]
	v_fma_f64 v[12:13], v[16:17], s[0:1], v[14:15]
	v_fma_f64 v[16:17], v[16:17], s[8:9], v[14:15]
	;; [unrolled: 1-line block ×4, first 2 shown]
	scratch_load_b32 v20, off, off offset:536 th:TH_LOAD_LU ; 4-byte Folded Reload
	s_wait_loadcnt 0x0
	ds_store_b128 v20, v[4:7]
	ds_store_b128 v20, v[12:15] offset:48
	ds_store_b128 v20, v[16:19] offset:96
	v_add_f64_e32 v[4:5], v[52:53], v[56:57]
	v_add_f64_e32 v[12:13], v[32:33], v[52:53]
	v_add_f64_e64 v[16:17], v[54:55], -v[58:59]
	v_add_f64_e64 v[20:21], v[52:53], -v[56:57]
	s_delay_alu instid0(VALU_DEP_4) | instskip(SKIP_1) | instid1(VALU_DEP_1)
	v_fma_f64 v[14:15], v[4:5], -0.5, v[32:33]
	v_add_f64_e32 v[4:5], v[54:55], v[58:59]
	v_fma_f64 v[18:19], v[4:5], -0.5, v[34:35]
	v_add_f64_e32 v[4:5], v[34:35], v[54:55]
	s_delay_alu instid0(VALU_DEP_1)
	v_add_f64_e32 v[6:7], v[4:5], v[58:59]
	v_add_f64_e32 v[4:5], v[12:13], v[56:57]
	v_fma_f64 v[12:13], v[16:17], s[0:1], v[14:15]
	v_fma_f64 v[16:17], v[16:17], s[8:9], v[14:15]
	;; [unrolled: 1-line block ×4, first 2 shown]
	scratch_load_b32 v20, off, off offset:500 th:TH_LOAD_LU ; 4-byte Folded Reload
	s_wait_loadcnt 0x0
	ds_store_b128 v20, v[4:7]
	ds_store_b128 v20, v[12:15] offset:48
	ds_store_b128 v20, v[16:19] offset:96
	v_add_f64_e32 v[4:5], v[60:61], v[64:65]
	v_add_f64_e64 v[16:17], v[60:61], -v[64:65]
	s_delay_alu instid0(VALU_DEP_2) | instskip(SKIP_2) | instid1(VALU_DEP_2)
	v_fma_f64 v[12:13], v[4:5], -0.5, v[8:9]
	v_add_f64_e32 v[4:5], v[62:63], v[66:67]
	v_add_f64_e32 v[8:9], v[8:9], v[60:61]
	v_fma_f64 v[14:15], v[4:5], -0.5, v[10:11]
	v_add_f64_e32 v[4:5], v[10:11], v[62:63]
	v_add_f64_e64 v[10:11], v[62:63], -v[66:67]
	s_delay_alu instid0(VALU_DEP_2) | instskip(SKIP_1) | instid1(VALU_DEP_3)
	v_add_f64_e32 v[6:7], v[4:5], v[66:67]
	v_add_f64_e32 v[4:5], v[8:9], v[64:65]
	v_fma_f64 v[8:9], v[10:11], s[0:1], v[12:13]
	v_fma_f64 v[12:13], v[10:11], s[8:9], v[12:13]
	;; [unrolled: 1-line block ×4, first 2 shown]
	scratch_load_b32 v16, off, off offset:432 th:TH_LOAD_LU ; 4-byte Folded Reload
	s_wait_loadcnt 0x0
	ds_store_b128 v16, v[4:7]
	ds_store_b128 v16, v[8:11] offset:48
	ds_store_b128 v16, v[12:15] offset:96
	global_wb scope:SCOPE_SE
	s_wait_dscnt 0x0
	s_barrier_signal -1
	s_barrier_wait -1
	global_inv scope:SCOPE_SE
	ds_load_b128 v[4:7], v140 offset:5040
	ds_load_b128 v[8:11], v140 offset:4032
	scratch_load_b128 v[14:17], off, off offset:316 th:TH_LOAD_LU ; 16-byte Folded Reload
	s_wait_loadcnt_dscnt 0x1
	v_mul_f64_e32 v[12:13], v[16:17], v[6:7]
	s_delay_alu instid0(VALU_DEP_1) | instskip(SKIP_1) | instid1(VALU_DEP_1)
	v_fma_f64 v[20:21], v[14:15], v[4:5], v[12:13]
	v_mul_f64_e32 v[4:5], v[16:17], v[4:5]
	v_fma_f64 v[22:23], v[14:15], v[6:7], -v[4:5]
	ds_load_b128 v[4:7], v140 offset:10080
	ds_load_b128 v[12:15], v140 offset:11088
	scratch_load_b128 v[30:33], off, off offset:340 th:TH_LOAD_LU ; 16-byte Folded Reload
	s_wait_loadcnt_dscnt 0x1
	v_mul_f64_e32 v[16:17], v[32:33], v[6:7]
	s_delay_alu instid0(VALU_DEP_1) | instskip(SKIP_1) | instid1(VALU_DEP_1)
	v_fma_f64 v[28:29], v[30:31], v[4:5], v[16:17]
	v_mul_f64_e32 v[4:5], v[32:33], v[4:5]
	v_fma_f64 v[30:31], v[30:31], v[6:7], -v[4:5]
	ds_load_b128 v[4:7], v140 offset:6048
	ds_load_b128 v[16:19], v140 offset:7056
	s_wait_dscnt 0x1
	v_mul_f64_e32 v[32:33], v[190:191], v[6:7]
	s_delay_alu instid0(VALU_DEP_1) | instskip(SKIP_1) | instid1(VALU_DEP_1)
	v_fma_f64 v[36:37], v[188:189], v[4:5], v[32:33]
	v_mul_f64_e32 v[4:5], v[190:191], v[4:5]
	v_fma_f64 v[38:39], v[188:189], v[6:7], -v[4:5]
	v_mul_f64_e32 v[4:5], v[186:187], v[14:15]
	s_delay_alu instid0(VALU_DEP_1) | instskip(SKIP_1) | instid1(VALU_DEP_1)
	v_fma_f64 v[40:41], v[184:185], v[12:13], v[4:5]
	v_mul_f64_e32 v[4:5], v[186:187], v[12:13]
	v_fma_f64 v[42:43], v[184:185], v[14:15], -v[4:5]
	s_wait_dscnt 0x0
	v_mul_f64_e32 v[4:5], v[198:199], v[18:19]
	s_delay_alu instid0(VALU_DEP_1) | instskip(SKIP_1) | instid1(VALU_DEP_1)
	v_fma_f64 v[44:45], v[196:197], v[16:17], v[4:5]
	v_mul_f64_e32 v[4:5], v[198:199], v[16:17]
	v_fma_f64 v[46:47], v[196:197], v[18:19], -v[4:5]
	ds_load_b128 v[4:7], v140 offset:12096
	ds_load_b128 v[12:15], v140 offset:13104
	s_wait_dscnt 0x1
	v_mul_f64_e32 v[16:17], v[194:195], v[6:7]
	s_delay_alu instid0(VALU_DEP_1) | instskip(SKIP_1) | instid1(VALU_DEP_1)
	v_fma_f64 v[48:49], v[192:193], v[4:5], v[16:17]
	v_mul_f64_e32 v[4:5], v[194:195], v[4:5]
	v_fma_f64 v[50:51], v[192:193], v[6:7], -v[4:5]
	ds_load_b128 v[4:7], v140 offset:8064
	ds_load_b128 v[16:19], v140 offset:9072
	s_wait_dscnt 0x1
	v_mul_f64_e32 v[32:33], v[206:207], v[6:7]
	s_delay_alu instid0(VALU_DEP_1) | instskip(SKIP_1) | instid1(VALU_DEP_1)
	v_fma_f64 v[52:53], v[204:205], v[4:5], v[32:33]
	v_mul_f64_e32 v[4:5], v[206:207], v[4:5]
	v_fma_f64 v[54:55], v[204:205], v[6:7], -v[4:5]
	v_mul_f64_e32 v[4:5], v[202:203], v[14:15]
	s_delay_alu instid0(VALU_DEP_1) | instskip(SKIP_1) | instid1(VALU_DEP_1)
	v_fma_f64 v[56:57], v[200:201], v[12:13], v[4:5]
	v_mul_f64_e32 v[4:5], v[202:203], v[12:13]
	v_fma_f64 v[58:59], v[200:201], v[14:15], -v[4:5]
	s_wait_dscnt 0x0
	v_mul_f64_e32 v[4:5], v[214:215], v[18:19]
	s_delay_alu instid0(VALU_DEP_1) | instskip(SKIP_2) | instid1(VALU_DEP_2)
	v_fma_f64 v[60:61], v[212:213], v[16:17], v[4:5]
	v_mul_f64_e32 v[4:5], v[214:215], v[16:17]
	v_add_f64_e32 v[16:17], v[20:21], v[28:29]
	v_fma_f64 v[62:63], v[212:213], v[18:19], -v[4:5]
	ds_load_b128 v[4:7], v140 offset:14112
	s_wait_dscnt 0x0
	v_mul_f64_e32 v[12:13], v[210:211], v[6:7]
	s_delay_alu instid0(VALU_DEP_1) | instskip(SKIP_1) | instid1(VALU_DEP_1)
	v_fma_f64 v[64:65], v[208:209], v[4:5], v[12:13]
	v_mul_f64_e32 v[4:5], v[210:211], v[4:5]
	v_fma_f64 v[66:67], v[208:209], v[6:7], -v[4:5]
	ds_load_b128 v[4:7], v140
	ds_load_b128 v[12:15], v140 offset:1008
	s_wait_dscnt 0x1
	v_fma_f64 v[18:19], v[16:17], -0.5, v[4:5]
	v_add_f64_e32 v[16:17], v[22:23], v[30:31]
	v_add_f64_e32 v[4:5], v[4:5], v[20:21]
	s_delay_alu instid0(VALU_DEP_2) | instskip(SKIP_2) | instid1(VALU_DEP_4)
	v_fma_f64 v[32:33], v[16:17], -0.5, v[6:7]
	v_add_f64_e32 v[6:7], v[6:7], v[22:23]
	v_add_f64_e64 v[22:23], v[22:23], -v[30:31]
	v_add_f64_e32 v[4:5], v[4:5], v[28:29]
	v_add_f64_e64 v[28:29], v[20:21], -v[28:29]
	s_delay_alu instid0(VALU_DEP_4) | instskip(NEXT) | instid1(VALU_DEP_4)
	v_add_f64_e32 v[6:7], v[6:7], v[30:31]
	v_fma_f64 v[16:17], v[22:23], s[0:1], v[18:19]
	v_fma_f64 v[20:21], v[22:23], s[8:9], v[18:19]
	s_delay_alu instid0(VALU_DEP_4)
	v_fma_f64 v[18:19], v[28:29], s[8:9], v[32:33]
	v_fma_f64 v[22:23], v[28:29], s[0:1], v[32:33]
	ds_load_b128 v[28:31], v140 offset:2016
	ds_load_b128 v[32:35], v140 offset:3024
	global_wb scope:SCOPE_SE
	s_wait_dscnt 0x0
	s_barrier_signal -1
	s_barrier_wait -1
	global_inv scope:SCOPE_SE
	scratch_load_b32 v68, off, off offset:588 th:TH_LOAD_LU ; 4-byte Folded Reload
	s_wait_loadcnt 0x0
	ds_store_b128 v68, v[4:7]
	ds_store_b128 v68, v[16:19] offset:144
	ds_store_b128 v68, v[20:23] offset:288
	v_add_f64_e32 v[4:5], v[36:37], v[40:41]
	v_add_f64_e64 v[20:21], v[36:37], -v[40:41]
	s_delay_alu instid0(VALU_DEP_2) | instskip(SKIP_2) | instid1(VALU_DEP_2)
	v_fma_f64 v[16:17], v[4:5], -0.5, v[12:13]
	v_add_f64_e32 v[4:5], v[38:39], v[42:43]
	v_add_f64_e32 v[12:13], v[12:13], v[36:37]
	v_fma_f64 v[18:19], v[4:5], -0.5, v[14:15]
	v_add_f64_e32 v[4:5], v[14:15], v[38:39]
	v_add_f64_e64 v[14:15], v[38:39], -v[42:43]
	s_delay_alu instid0(VALU_DEP_2) | instskip(SKIP_1) | instid1(VALU_DEP_3)
	v_add_f64_e32 v[6:7], v[4:5], v[42:43]
	v_add_f64_e32 v[4:5], v[12:13], v[40:41]
	v_fma_f64 v[12:13], v[14:15], s[0:1], v[16:17]
	v_fma_f64 v[16:17], v[14:15], s[8:9], v[16:17]
	;; [unrolled: 1-line block ×4, first 2 shown]
	scratch_load_b32 v20, off, off offset:584 th:TH_LOAD_LU ; 4-byte Folded Reload
	s_wait_loadcnt 0x0
	ds_store_b128 v20, v[4:7]
	ds_store_b128 v20, v[12:15] offset:144
	ds_store_b128 v20, v[16:19] offset:288
	v_add_f64_e32 v[4:5], v[44:45], v[48:49]
	v_add_f64_e32 v[12:13], v[28:29], v[44:45]
	v_add_f64_e64 v[16:17], v[46:47], -v[50:51]
	v_add_f64_e64 v[20:21], v[44:45], -v[48:49]
	s_delay_alu instid0(VALU_DEP_4) | instskip(SKIP_1) | instid1(VALU_DEP_1)
	v_fma_f64 v[14:15], v[4:5], -0.5, v[28:29]
	v_add_f64_e32 v[4:5], v[46:47], v[50:51]
	v_fma_f64 v[18:19], v[4:5], -0.5, v[30:31]
	v_add_f64_e32 v[4:5], v[30:31], v[46:47]
	s_delay_alu instid0(VALU_DEP_1)
	v_add_f64_e32 v[6:7], v[4:5], v[50:51]
	v_add_f64_e32 v[4:5], v[12:13], v[48:49]
	v_fma_f64 v[12:13], v[16:17], s[0:1], v[14:15]
	v_fma_f64 v[16:17], v[16:17], s[8:9], v[14:15]
	v_fma_f64 v[14:15], v[20:21], s[8:9], v[18:19]
	v_fma_f64 v[18:19], v[20:21], s[0:1], v[18:19]
	scratch_load_b32 v20, off, off offset:580 th:TH_LOAD_LU ; 4-byte Folded Reload
	s_wait_loadcnt 0x0
	ds_store_b128 v20, v[4:7]
	ds_store_b128 v20, v[12:15] offset:144
	ds_store_b128 v20, v[16:19] offset:288
	v_add_f64_e32 v[4:5], v[52:53], v[56:57]
	v_add_f64_e32 v[12:13], v[32:33], v[52:53]
	v_add_f64_e64 v[16:17], v[54:55], -v[58:59]
	v_add_f64_e64 v[20:21], v[52:53], -v[56:57]
	s_delay_alu instid0(VALU_DEP_4) | instskip(SKIP_1) | instid1(VALU_DEP_1)
	v_fma_f64 v[14:15], v[4:5], -0.5, v[32:33]
	v_add_f64_e32 v[4:5], v[54:55], v[58:59]
	v_fma_f64 v[18:19], v[4:5], -0.5, v[34:35]
	v_add_f64_e32 v[4:5], v[34:35], v[54:55]
	s_delay_alu instid0(VALU_DEP_1)
	v_add_f64_e32 v[6:7], v[4:5], v[58:59]
	v_add_f64_e32 v[4:5], v[12:13], v[56:57]
	v_fma_f64 v[12:13], v[16:17], s[0:1], v[14:15]
	v_fma_f64 v[16:17], v[16:17], s[8:9], v[14:15]
	;; [unrolled: 1-line block ×4, first 2 shown]
	scratch_load_b32 v20, off, off offset:576 th:TH_LOAD_LU ; 4-byte Folded Reload
	s_wait_loadcnt 0x0
	ds_store_b128 v20, v[4:7]
	ds_store_b128 v20, v[12:15] offset:144
	ds_store_b128 v20, v[16:19] offset:288
	v_add_f64_e32 v[4:5], v[60:61], v[64:65]
	v_add_f64_e64 v[16:17], v[60:61], -v[64:65]
	s_delay_alu instid0(VALU_DEP_2) | instskip(SKIP_2) | instid1(VALU_DEP_2)
	v_fma_f64 v[12:13], v[4:5], -0.5, v[8:9]
	v_add_f64_e32 v[4:5], v[62:63], v[66:67]
	v_add_f64_e32 v[8:9], v[8:9], v[60:61]
	v_fma_f64 v[14:15], v[4:5], -0.5, v[10:11]
	v_add_f64_e32 v[4:5], v[10:11], v[62:63]
	v_add_f64_e64 v[10:11], v[62:63], -v[66:67]
	s_delay_alu instid0(VALU_DEP_2) | instskip(SKIP_1) | instid1(VALU_DEP_3)
	v_add_f64_e32 v[6:7], v[4:5], v[66:67]
	v_add_f64_e32 v[4:5], v[8:9], v[64:65]
	v_fma_f64 v[8:9], v[10:11], s[0:1], v[12:13]
	v_fma_f64 v[12:13], v[10:11], s[8:9], v[12:13]
	v_fma_f64 v[10:11], v[16:17], s[8:9], v[14:15]
	v_fma_f64 v[14:15], v[16:17], s[0:1], v[14:15]
	scratch_load_b32 v16, off, off offset:572 th:TH_LOAD_LU ; 4-byte Folded Reload
	s_mov_b32 s0, 0x4755a5e
	s_mov_b32 s1, 0xbfe2cf23
	;; [unrolled: 1-line block ×3, first 2 shown]
	s_wait_alu 0xfffe
	s_mov_b32 s8, s0
	s_wait_loadcnt 0x0
	ds_store_b128 v16, v[4:7]
	ds_store_b128 v16, v[8:11] offset:144
	ds_store_b128 v16, v[12:15] offset:288
	global_wb scope:SCOPE_SE
	s_wait_dscnt 0x0
	s_barrier_signal -1
	s_barrier_wait -1
	global_inv scope:SCOPE_SE
	ds_load_b128 v[60:63], v140 offset:3024
	ds_load_b128 v[4:7], v140 offset:2016
	scratch_load_b128 v[12:15], off, off offset:284 th:TH_LOAD_LU ; 16-byte Folded Reload
	s_wait_loadcnt_dscnt 0x1
	v_mul_f64_e32 v[8:9], v[14:15], v[62:63]
	v_mul_f64_e32 v[10:11], v[14:15], v[60:61]
	s_delay_alu instid0(VALU_DEP_2) | instskip(NEXT) | instid1(VALU_DEP_2)
	v_fma_f64 v[32:33], v[12:13], v[60:61], v[8:9]
	v_fma_f64 v[34:35], v[12:13], v[62:63], -v[10:11]
	ds_load_b128 v[8:11], v140 offset:6048
	ds_load_b128 v[12:15], v140 offset:7056
	scratch_load_b128 v[18:21], off, off offset:300 th:TH_LOAD_LU ; 16-byte Folded Reload
	s_wait_loadcnt_dscnt 0x1
	v_mul_f64_e32 v[16:17], v[20:21], v[10:11]
	s_delay_alu instid0(VALU_DEP_1) | instskip(SKIP_1) | instid1(VALU_DEP_1)
	v_fma_f64 v[36:37], v[18:19], v[8:9], v[16:17]
	v_mul_f64_e32 v[8:9], v[20:21], v[8:9]
	v_fma_f64 v[38:39], v[18:19], v[10:11], -v[8:9]
	ds_load_b128 v[8:11], v140 offset:12096
	ds_load_b128 v[16:19], v140 offset:13104
	scratch_load_b128 v[28:31], off, off offset:520 th:TH_LOAD_LU ; 16-byte Folded Reload
	s_wait_loadcnt_dscnt 0x1
	v_mul_f64_e32 v[20:21], v[30:31], v[10:11]
	s_delay_alu instid0(VALU_DEP_1) | instskip(SKIP_1) | instid1(VALU_DEP_2)
	v_fma_f64 v[40:41], v[28:29], v[8:9], v[20:21]
	v_mul_f64_e32 v[8:9], v[30:31], v[8:9]
	v_add_f64_e64 v[84:85], v[32:33], -v[40:41]
	s_delay_alu instid0(VALU_DEP_2)
	v_fma_f64 v[42:43], v[28:29], v[10:11], -v[8:9]
	ds_load_b128 v[8:11], v140 offset:9072
	ds_load_b128 v[20:23], v140 offset:8064
	scratch_load_b128 v[46:49], off, off offset:504 th:TH_LOAD_LU ; 16-byte Folded Reload
	v_add_f64_e64 v[80:81], v[34:35], -v[42:43]
	s_wait_loadcnt_dscnt 0x1
	v_mul_f64_e32 v[28:29], v[48:49], v[10:11]
	s_delay_alu instid0(VALU_DEP_1) | instskip(SKIP_1) | instid1(VALU_DEP_2)
	v_fma_f64 v[44:45], v[46:47], v[8:9], v[28:29]
	v_mul_f64_e32 v[8:9], v[48:49], v[8:9]
	v_add_f64_e64 v[86:87], v[36:37], -v[44:45]
	s_delay_alu instid0(VALU_DEP_2)
	v_fma_f64 v[46:47], v[46:47], v[10:11], -v[8:9]
	ds_load_b128 v[8:11], v140 offset:4032
	ds_load_b128 v[28:31], v140 offset:5040
	scratch_load_b128 v[54:57], off, off offset:540 th:TH_LOAD_LU ; 16-byte Folded Reload
	s_wait_dscnt 0x1
	v_mul_f64_e32 v[48:49], v[158:159], v[10:11]
	v_add_f64_e64 v[82:83], v[38:39], -v[46:47]
	s_delay_alu instid0(VALU_DEP_2) | instskip(SKIP_1) | instid1(VALU_DEP_1)
	v_fma_f64 v[48:49], v[156:157], v[8:9], v[48:49]
	v_mul_f64_e32 v[8:9], v[158:159], v[8:9]
	v_fma_f64 v[50:51], v[156:157], v[10:11], -v[8:9]
	s_wait_loadcnt 0x0
	v_mul_f64_e32 v[8:9], v[56:57], v[14:15]
	s_delay_alu instid0(VALU_DEP_1) | instskip(SKIP_1) | instid1(VALU_DEP_1)
	v_fma_f64 v[52:53], v[54:55], v[12:13], v[8:9]
	v_mul_f64_e32 v[8:9], v[56:57], v[12:13]
	v_fma_f64 v[54:55], v[54:55], v[14:15], -v[8:9]
	ds_load_b128 v[8:11], v140 offset:10080
	ds_load_b128 v[12:15], v140 offset:11088
	s_wait_dscnt 0x1
	v_mul_f64_e32 v[56:57], v[162:163], v[10:11]
	s_delay_alu instid0(VALU_DEP_1) | instskip(SKIP_1) | instid1(VALU_DEP_1)
	v_fma_f64 v[56:57], v[160:161], v[8:9], v[56:57]
	v_mul_f64_e32 v[8:9], v[162:163], v[8:9]
	v_fma_f64 v[58:59], v[160:161], v[10:11], -v[8:9]
	v_mul_f64_e32 v[8:9], v[154:155], v[18:19]
	s_wait_dscnt 0x0
	v_mul_f64_e32 v[10:11], v[178:179], v[12:13]
	s_delay_alu instid0(VALU_DEP_2) | instskip(SKIP_1) | instid1(VALU_DEP_3)
	v_fma_f64 v[60:61], v[152:153], v[16:17], v[8:9]
	v_mul_f64_e32 v[8:9], v[154:155], v[16:17]
	v_fma_f64 v[74:75], v[176:177], v[14:15], -v[10:11]
	v_add_f64_e32 v[16:17], v[36:37], v[44:45]
	s_delay_alu instid0(VALU_DEP_3) | instskip(SKIP_1) | instid1(VALU_DEP_1)
	v_fma_f64 v[62:63], v[152:153], v[18:19], -v[8:9]
	v_mul_f64_e32 v[8:9], v[174:175], v[30:31]
	v_fma_f64 v[64:65], v[172:173], v[28:29], v[8:9]
	v_mul_f64_e32 v[8:9], v[174:175], v[28:29]
	s_delay_alu instid0(VALU_DEP_1) | instskip(SKIP_1) | instid1(VALU_DEP_1)
	v_fma_f64 v[66:67], v[172:173], v[30:31], -v[8:9]
	v_mul_f64_e32 v[8:9], v[166:167], v[22:23]
	v_fma_f64 v[68:69], v[164:165], v[20:21], v[8:9]
	v_mul_f64_e32 v[8:9], v[166:167], v[20:21]
	s_delay_alu instid0(VALU_DEP_1) | instskip(SKIP_1) | instid1(VALU_DEP_1)
	v_fma_f64 v[70:71], v[164:165], v[22:23], -v[8:9]
	v_mul_f64_e32 v[8:9], v[178:179], v[14:15]
	v_fma_f64 v[72:73], v[176:177], v[12:13], v[8:9]
	ds_load_b128 v[8:11], v140 offset:14112
	s_wait_dscnt 0x0
	v_mul_f64_e32 v[12:13], v[170:171], v[10:11]
	v_mul_f64_e32 v[14:15], v[170:171], v[8:9]
	s_delay_alu instid0(VALU_DEP_2) | instskip(NEXT) | instid1(VALU_DEP_2)
	v_fma_f64 v[76:77], v[168:169], v[8:9], v[12:13]
	v_fma_f64 v[78:79], v[168:169], v[10:11], -v[14:15]
	v_add_f64_e64 v[8:9], v[32:33], -v[36:37]
	v_add_f64_e64 v[10:11], v[40:41], -v[44:45]
	v_add_f64_e64 v[12:13], v[34:35], -v[38:39]
	v_add_f64_e64 v[14:15], v[42:43], -v[46:47]
	s_delay_alu instid0(VALU_DEP_3)
	v_add_f64_e32 v[20:21], v[8:9], v[10:11]
	ds_load_b128 v[8:11], v140
	v_add_f64_e32 v[22:23], v[12:13], v[14:15]
	ds_load_b128 v[12:15], v140 offset:1008
	global_wb scope:SCOPE_SE
	s_wait_dscnt 0x0
	s_barrier_signal -1
	s_barrier_wait -1
	global_inv scope:SCOPE_SE
	v_fma_f64 v[28:29], v[16:17], -0.5, v[8:9]
	v_add_f64_e32 v[16:17], v[38:39], v[46:47]
	s_delay_alu instid0(VALU_DEP_1) | instskip(NEXT) | instid1(VALU_DEP_3)
	v_fma_f64 v[30:31], v[16:17], -0.5, v[10:11]
	v_fma_f64 v[16:17], v[80:81], s[10:11], v[28:29]
	v_fma_f64 v[28:29], v[80:81], s[12:13], v[28:29]
	s_delay_alu instid0(VALU_DEP_3) | instskip(NEXT) | instid1(VALU_DEP_3)
	v_fma_f64 v[18:19], v[84:85], s[12:13], v[30:31]
	v_fma_f64 v[16:17], v[82:83], s[0:1], v[16:17]
	;; [unrolled: 1-line block ×3, first 2 shown]
	s_wait_alu 0xfffe
	s_delay_alu instid0(VALU_DEP_4) | instskip(NEXT) | instid1(VALU_DEP_4)
	v_fma_f64 v[28:29], v[82:83], s[8:9], v[28:29]
	v_fma_f64 v[18:19], v[86:87], s[8:9], v[18:19]
	s_delay_alu instid0(VALU_DEP_4) | instskip(NEXT) | instid1(VALU_DEP_4)
	v_fma_f64 v[16:17], v[20:21], s[14:15], v[16:17]
	v_fma_f64 v[30:31], v[86:87], s[0:1], v[30:31]
	s_delay_alu instid0(VALU_DEP_4) | instskip(SKIP_2) | instid1(VALU_DEP_4)
	v_fma_f64 v[20:21], v[20:21], s[14:15], v[28:29]
	v_add_f64_e32 v[28:29], v[32:33], v[40:41]
	v_fma_f64 v[18:19], v[22:23], s[14:15], v[18:19]
	v_fma_f64 v[22:23], v[22:23], s[14:15], v[30:31]
	v_add_f64_e32 v[30:31], v[34:35], v[42:43]
	s_delay_alu instid0(VALU_DEP_4) | instskip(SKIP_2) | instid1(VALU_DEP_4)
	v_fma_f64 v[28:29], v[28:29], -0.5, v[8:9]
	v_add_f64_e32 v[8:9], v[8:9], v[32:33]
	v_add_f64_e64 v[32:33], v[36:37], -v[32:33]
	v_fma_f64 v[30:31], v[30:31], -0.5, v[10:11]
	v_add_f64_e32 v[10:11], v[10:11], v[34:35]
	s_delay_alu instid0(VALU_DEP_4) | instskip(SKIP_2) | instid1(VALU_DEP_4)
	v_add_f64_e32 v[8:9], v[8:9], v[36:37]
	v_add_f64_e64 v[34:35], v[38:39], -v[34:35]
	v_add_f64_e64 v[36:37], v[44:45], -v[40:41]
	v_add_f64_e32 v[10:11], v[10:11], v[38:39]
	s_delay_alu instid0(VALU_DEP_4) | instskip(SKIP_1) | instid1(VALU_DEP_4)
	v_add_f64_e32 v[8:9], v[8:9], v[44:45]
	v_add_f64_e64 v[38:39], v[46:47], -v[42:43]
	v_add_f64_e32 v[32:33], v[32:33], v[36:37]
	s_delay_alu instid0(VALU_DEP_4) | instskip(NEXT) | instid1(VALU_DEP_4)
	v_add_f64_e32 v[10:11], v[10:11], v[46:47]
	v_add_f64_e32 v[8:9], v[8:9], v[40:41]
	v_fma_f64 v[40:41], v[82:83], s[12:13], v[28:29]
	v_fma_f64 v[28:29], v[82:83], s[10:11], v[28:29]
	v_add_f64_e32 v[34:35], v[34:35], v[38:39]
	v_add_f64_e64 v[82:83], v[54:55], -v[58:59]
	v_add_f64_e32 v[10:11], v[10:11], v[42:43]
	v_fma_f64 v[42:43], v[86:87], s[10:11], v[30:31]
	v_fma_f64 v[36:37], v[80:81], s[0:1], v[40:41]
	;; [unrolled: 1-line block ×4, first 2 shown]
	v_add_f64_e64 v[80:81], v[50:51], -v[62:63]
	v_add_f64_e64 v[86:87], v[52:53], -v[56:57]
	v_fma_f64 v[40:41], v[84:85], s[8:9], v[42:43]
	v_fma_f64 v[28:29], v[32:33], s[14:15], v[36:37]
	;; [unrolled: 1-line block ×3, first 2 shown]
	v_add_f64_e64 v[36:37], v[48:49], -v[52:53]
	v_add_f64_e64 v[38:39], v[60:61], -v[56:57]
	v_fma_f64 v[42:43], v[84:85], s[0:1], v[30:31]
	v_add_f64_e64 v[84:85], v[48:49], -v[60:61]
	v_fma_f64 v[30:31], v[34:35], s[14:15], v[40:41]
	s_delay_alu instid0(VALU_DEP_4) | instskip(SKIP_3) | instid1(VALU_DEP_2)
	v_add_f64_e32 v[40:41], v[36:37], v[38:39]
	v_add_f64_e64 v[36:37], v[50:51], -v[54:55]
	v_add_f64_e64 v[38:39], v[62:63], -v[58:59]
	v_fma_f64 v[34:35], v[34:35], s[14:15], v[42:43]
	v_add_f64_e32 v[42:43], v[36:37], v[38:39]
	v_add_f64_e32 v[36:37], v[52:53], v[56:57]
	s_delay_alu instid0(VALU_DEP_1) | instskip(SKIP_1) | instid1(VALU_DEP_1)
	v_fma_f64 v[44:45], v[36:37], -0.5, v[12:13]
	v_add_f64_e32 v[36:37], v[54:55], v[58:59]
	v_fma_f64 v[46:47], v[36:37], -0.5, v[14:15]
	s_delay_alu instid0(VALU_DEP_3) | instskip(SKIP_1) | instid1(VALU_DEP_3)
	v_fma_f64 v[36:37], v[80:81], s[10:11], v[44:45]
	v_fma_f64 v[44:45], v[80:81], s[12:13], v[44:45]
	;; [unrolled: 1-line block ×3, first 2 shown]
	s_delay_alu instid0(VALU_DEP_3) | instskip(SKIP_1) | instid1(VALU_DEP_4)
	v_fma_f64 v[36:37], v[82:83], s[0:1], v[36:37]
	v_fma_f64 v[46:47], v[84:85], s[10:11], v[46:47]
	v_fma_f64 v[44:45], v[82:83], s[8:9], v[44:45]
	s_delay_alu instid0(VALU_DEP_4) | instskip(NEXT) | instid1(VALU_DEP_4)
	v_fma_f64 v[38:39], v[86:87], s[8:9], v[38:39]
	v_fma_f64 v[36:37], v[40:41], s[14:15], v[36:37]
	s_delay_alu instid0(VALU_DEP_4) | instskip(NEXT) | instid1(VALU_DEP_4)
	v_fma_f64 v[46:47], v[86:87], s[0:1], v[46:47]
	v_fma_f64 v[40:41], v[40:41], s[14:15], v[44:45]
	v_add_f64_e32 v[44:45], v[48:49], v[60:61]
	v_fma_f64 v[38:39], v[42:43], s[14:15], v[38:39]
	s_delay_alu instid0(VALU_DEP_4) | instskip(SKIP_1) | instid1(VALU_DEP_4)
	v_fma_f64 v[42:43], v[42:43], s[14:15], v[46:47]
	v_add_f64_e32 v[46:47], v[50:51], v[62:63]
	v_fma_f64 v[44:45], v[44:45], -0.5, v[12:13]
	v_add_f64_e32 v[12:13], v[12:13], v[48:49]
	v_add_f64_e64 v[48:49], v[52:53], -v[48:49]
	s_delay_alu instid0(VALU_DEP_4) | instskip(SKIP_1) | instid1(VALU_DEP_4)
	v_fma_f64 v[46:47], v[46:47], -0.5, v[14:15]
	v_add_f64_e32 v[14:15], v[14:15], v[50:51]
	v_add_f64_e32 v[12:13], v[12:13], v[52:53]
	v_add_f64_e64 v[50:51], v[54:55], -v[50:51]
	v_add_f64_e64 v[52:53], v[56:57], -v[60:61]
	s_delay_alu instid0(VALU_DEP_4) | instskip(NEXT) | instid1(VALU_DEP_4)
	v_add_f64_e32 v[14:15], v[14:15], v[54:55]
	v_add_f64_e32 v[12:13], v[12:13], v[56:57]
	v_add_f64_e64 v[54:55], v[58:59], -v[62:63]
	v_fma_f64 v[56:57], v[82:83], s[12:13], v[44:45]
	v_fma_f64 v[44:45], v[82:83], s[10:11], v[44:45]
	v_add_f64_e32 v[48:49], v[48:49], v[52:53]
	v_add_f64_e64 v[82:83], v[66:67], -v[78:79]
	v_add_f64_e32 v[14:15], v[14:15], v[58:59]
	v_fma_f64 v[58:59], v[86:87], s[10:11], v[46:47]
	v_add_f64_e32 v[50:51], v[50:51], v[54:55]
	v_fma_f64 v[52:53], v[80:81], s[0:1], v[56:57]
	v_fma_f64 v[54:55], v[80:81], s[8:9], v[44:45]
	;; [unrolled: 1-line block ×3, first 2 shown]
	v_add_f64_e32 v[12:13], v[12:13], v[60:61]
	v_add_f64_e64 v[80:81], v[70:71], -v[74:75]
	v_add_f64_e64 v[86:87], v[64:65], -v[76:77]
	v_add_f64_e32 v[14:15], v[14:15], v[62:63]
	v_fma_f64 v[56:57], v[84:85], s[8:9], v[58:59]
	v_fma_f64 v[44:45], v[48:49], s[14:15], v[52:53]
	;; [unrolled: 1-line block ×3, first 2 shown]
	v_add_f64_e64 v[52:53], v[68:69], -v[64:65]
	v_add_f64_e64 v[54:55], v[72:73], -v[76:77]
	v_fma_f64 v[58:59], v[84:85], s[0:1], v[46:47]
	v_add_f64_e64 v[84:85], v[68:69], -v[72:73]
	v_fma_f64 v[46:47], v[50:51], s[14:15], v[56:57]
	s_delay_alu instid0(VALU_DEP_4) | instskip(SKIP_3) | instid1(VALU_DEP_2)
	v_add_f64_e32 v[56:57], v[52:53], v[54:55]
	v_add_f64_e64 v[52:53], v[70:71], -v[66:67]
	v_add_f64_e64 v[54:55], v[74:75], -v[78:79]
	v_fma_f64 v[50:51], v[50:51], s[14:15], v[58:59]
	v_add_f64_e32 v[58:59], v[52:53], v[54:55]
	v_add_f64_e32 v[52:53], v[64:65], v[76:77]
	s_delay_alu instid0(VALU_DEP_1) | instskip(SKIP_1) | instid1(VALU_DEP_1)
	v_fma_f64 v[60:61], v[52:53], -0.5, v[4:5]
	v_add_f64_e32 v[52:53], v[66:67], v[78:79]
	v_fma_f64 v[62:63], v[52:53], -0.5, v[6:7]
	s_delay_alu instid0(VALU_DEP_3) | instskip(SKIP_1) | instid1(VALU_DEP_3)
	v_fma_f64 v[52:53], v[80:81], s[12:13], v[60:61]
	v_fma_f64 v[60:61], v[80:81], s[10:11], v[60:61]
	;; [unrolled: 1-line block ×3, first 2 shown]
	s_delay_alu instid0(VALU_DEP_3) | instskip(NEXT) | instid1(VALU_DEP_3)
	v_fma_f64 v[52:53], v[82:83], s[0:1], v[52:53]
	v_fma_f64 v[60:61], v[82:83], s[8:9], v[60:61]
	;; [unrolled: 1-line block ×3, first 2 shown]
	s_delay_alu instid0(VALU_DEP_4) | instskip(NEXT) | instid1(VALU_DEP_4)
	v_fma_f64 v[54:55], v[86:87], s[8:9], v[54:55]
	v_fma_f64 v[52:53], v[56:57], s[14:15], v[52:53]
	s_delay_alu instid0(VALU_DEP_4) | instskip(SKIP_3) | instid1(VALU_DEP_3)
	v_fma_f64 v[56:57], v[56:57], s[14:15], v[60:61]
	v_add_f64_e32 v[60:61], v[68:69], v[72:73]
	v_fma_f64 v[62:63], v[86:87], s[0:1], v[62:63]
	v_fma_f64 v[54:55], v[58:59], s[14:15], v[54:55]
	v_fma_f64 v[60:61], v[60:61], -0.5, v[4:5]
	v_add_f64_e32 v[4:5], v[4:5], v[64:65]
	v_add_f64_e64 v[64:65], v[64:65], -v[68:69]
	v_fma_f64 v[58:59], v[58:59], s[14:15], v[62:63]
	v_add_f64_e32 v[62:63], v[70:71], v[74:75]
	s_delay_alu instid0(VALU_DEP_4) | instskip(SKIP_1) | instid1(VALU_DEP_3)
	v_add_f64_e32 v[4:5], v[4:5], v[68:69]
	v_add_f64_e64 v[68:69], v[76:77], -v[72:73]
	v_fma_f64 v[62:63], v[62:63], -0.5, v[6:7]
	v_add_f64_e32 v[6:7], v[6:7], v[66:67]
	v_add_f64_e64 v[66:67], v[66:67], -v[70:71]
	v_add_f64_e32 v[4:5], v[4:5], v[72:73]
	v_fma_f64 v[72:73], v[82:83], s[10:11], v[60:61]
	v_fma_f64 v[60:61], v[82:83], s[12:13], v[60:61]
	v_add_f64_e32 v[68:69], v[64:65], v[68:69]
	v_add_f64_e32 v[6:7], v[6:7], v[70:71]
	v_add_f64_e64 v[70:71], v[78:79], -v[74:75]
	v_add_f64_e32 v[4:5], v[4:5], v[76:77]
	v_fma_f64 v[64:65], v[80:81], s[0:1], v[72:73]
	v_fma_f64 v[60:61], v[80:81], s[8:9], v[60:61]
	v_add_f64_e32 v[6:7], v[6:7], v[74:75]
	v_fma_f64 v[74:75], v[86:87], s[12:13], v[62:63]
	v_fma_f64 v[62:63], v[86:87], s[10:11], v[62:63]
	;; [unrolled: 3-line block ×3, first 2 shown]
	scratch_load_b32 v68, off, off offset:556 th:TH_LOAD_LU ; 4-byte Folded Reload
	v_add_f64_e32 v[6:7], v[6:7], v[78:79]
	v_fma_f64 v[66:67], v[84:85], s[8:9], v[74:75]
	v_fma_f64 v[62:63], v[84:85], s[0:1], v[62:63]
	s_wait_loadcnt 0x0
	ds_store_b128 v68, v[8:11]
	ds_store_b128 v68, v[16:19] offset:432
	ds_store_b128 v68, v[28:31] offset:864
	;; [unrolled: 1-line block ×4, first 2 shown]
	ds_store_b128 v141, v[12:15]
	ds_store_b128 v141, v[36:39] offset:432
	ds_store_b128 v141, v[44:47] offset:864
	;; [unrolled: 1-line block ×4, first 2 shown]
	scratch_load_b32 v8, off, off offset:568 th:TH_LOAD_LU ; 4-byte Folded Reload
	v_fma_f64 v[66:67], v[70:71], s[14:15], v[66:67]
	v_fma_f64 v[62:63], v[70:71], s[14:15], v[62:63]
	s_wait_loadcnt 0x0
	ds_store_b128 v8, v[4:7]
	ds_store_b128 v8, v[64:67] offset:432
	ds_store_b128 v8, v[52:55] offset:864
	;; [unrolled: 1-line block ×4, first 2 shown]
	global_wb scope:SCOPE_SE
	s_wait_dscnt 0x0
	s_barrier_signal -1
	s_barrier_wait -1
	global_inv scope:SCOPE_SE
	ds_load_b128 v[68:71], v140
	ds_load_b128 v[64:67], v140 offset:1008
	ds_load_b128 v[108:111], v140 offset:2160
	;; [unrolled: 1-line block ×13, first 2 shown]
	s_and_saveexec_b32 s0, vcc_lo
	s_cbranch_execz .LBB0_7
; %bb.6:
	ds_load_b128 v[60:63], v140 offset:2016
	ds_load_b128 v[146:149], v140 offset:4176
	;; [unrolled: 1-line block ×7, first 2 shown]
.LBB0_7:
	s_wait_alu 0xfffe
	s_or_b32 exec_lo, exec_lo, s0
	s_wait_dscnt 0xb
	v_mul_f64_e32 v[4:5], v[182:183], v[110:111]
	v_mul_f64_e32 v[6:7], v[182:183], v[108:109]
	s_wait_dscnt 0x9
	v_mul_f64_e32 v[8:9], v[218:219], v[118:119]
	v_mul_f64_e32 v[10:11], v[218:219], v[116:117]
	;; [unrolled: 3-line block ×3, first 2 shown]
	v_mul_f64_e32 v[16:17], v[226:227], v[126:127]
	v_mul_f64_e32 v[18:19], v[226:227], v[124:125]
	;; [unrolled: 1-line block ×6, first 2 shown]
	s_wait_dscnt 0x0
	v_mul_f64_e32 v[36:37], v[238:239], v[106:107]
	v_mul_f64_e32 v[38:39], v[238:239], v[104:105]
	v_mul_f64_e32 v[40:41], v[242:243], v[98:99]
	v_mul_f64_e32 v[42:43], v[242:243], v[96:97]
	v_mul_f64_e32 v[44:45], v[246:247], v[78:79]
	v_mul_f64_e32 v[46:47], v[246:247], v[76:77]
	v_mul_f64_e32 v[48:49], v[250:251], v[82:83]
	v_mul_f64_e32 v[50:51], v[250:251], v[80:81]
	v_mul_f64_e32 v[52:53], v[254:255], v[30:31]
	v_mul_f64_e32 v[54:55], v[254:255], v[28:29]
	v_mul_f64_e32 v[56:57], v[2:3], v[74:75]
	v_mul_f64_e32 v[2:3], v[2:3], v[72:73]
	s_mov_b32 s12, 0x37e14327
	s_mov_b32 s14, 0xe976ee23
	;; [unrolled: 1-line block ×14, first 2 shown]
	v_fma_f64 v[4:5], v[180:181], v[108:109], v[4:5]
	v_fma_f64 v[6:7], v[180:181], v[110:111], -v[6:7]
	v_fma_f64 v[8:9], v[216:217], v[116:117], v[8:9]
	v_fma_f64 v[10:11], v[216:217], v[118:119], -v[10:11]
	v_fma_f64 v[12:13], v[220:221], v[132:133], v[12:13]
	v_fma_f64 v[14:15], v[220:221], v[134:135], -v[14:15]
	v_fma_f64 v[16:17], v[224:225], v[124:125], v[16:17]
	v_fma_f64 v[18:19], v[224:225], v[126:127], -v[18:19]
	v_fma_f64 v[20:21], v[228:229], v[84:85], v[20:21]
	v_fma_f64 v[22:23], v[228:229], v[86:87], -v[22:23]
	v_fma_f64 v[32:33], v[232:233], v[88:89], v[32:33]
	v_fma_f64 v[34:35], v[232:233], v[90:91], -v[34:35]
	v_fma_f64 v[36:37], v[236:237], v[104:105], v[36:37]
	v_fma_f64 v[38:39], v[236:237], v[106:107], -v[38:39]
	v_fma_f64 v[40:41], v[240:241], v[96:97], v[40:41]
	v_fma_f64 v[42:43], v[240:241], v[98:99], -v[42:43]
	v_fma_f64 v[44:45], v[244:245], v[76:77], v[44:45]
	v_fma_f64 v[46:47], v[244:245], v[78:79], -v[46:47]
	v_fma_f64 v[48:49], v[248:249], v[80:81], v[48:49]
	v_fma_f64 v[50:51], v[248:249], v[82:83], -v[50:51]
	v_fma_f64 v[28:29], v[252:253], v[28:29], v[52:53]
	v_fma_f64 v[30:31], v[252:253], v[30:31], -v[54:55]
	v_fma_f64 v[52:53], v[0:1], v[72:73], v[56:57]
	v_fma_f64 v[0:1], v[0:1], v[74:75], -v[2:3]
	s_mov_b32 s19, 0xbfe77f67
	s_mov_b32 s23, 0x3fd5d0dc
	s_wait_alu 0xfffe
	s_mov_b32 s18, s16
	s_mov_b32 s22, s20
	;; [unrolled: 1-line block ×4, first 2 shown]
	v_add_f64_e32 v[58:59], v[4:5], v[12:13]
	v_add_f64_e32 v[76:77], v[6:7], v[14:15]
	;; [unrolled: 1-line block ×4, first 2 shown]
	v_add_f64_e64 v[8:9], v[8:9], -v[16:17]
	v_add_f64_e64 v[10:11], v[10:11], -v[18:19]
	;; [unrolled: 1-line block ×4, first 2 shown]
	v_add_f64_e32 v[54:55], v[20:21], v[36:37]
	v_add_f64_e32 v[56:57], v[22:23], v[38:39]
	v_add_f64_e32 v[72:73], v[32:33], v[40:41]
	v_add_f64_e32 v[74:75], v[34:35], v[42:43]
	v_add_f64_e64 v[32:33], v[32:33], -v[40:41]
	v_add_f64_e64 v[34:35], v[34:35], -v[42:43]
	v_add_f64_e32 v[2:3], v[44:45], v[48:49]
	v_add_f64_e32 v[82:83], v[46:47], v[50:51]
	v_add_f64_e64 v[16:17], v[48:49], -v[44:45]
	v_add_f64_e64 v[18:19], v[50:51], -v[46:47]
	v_add_f64_e32 v[40:41], v[28:29], v[52:53]
	v_add_f64_e32 v[42:43], v[30:31], v[0:1]
	v_add_f64_e64 v[28:29], v[52:53], -v[28:29]
	v_add_f64_e64 v[30:31], v[0:1], -v[30:31]
	v_add_f64_e64 v[20:21], v[20:21], -v[36:37]
	v_add_f64_e64 v[22:23], v[22:23], -v[38:39]
	v_add_f64_e32 v[4:5], v[78:79], v[58:59]
	v_add_f64_e32 v[6:7], v[80:81], v[76:77]
	v_add_f64_e64 v[84:85], v[8:9], -v[12:13]
	v_add_f64_e64 v[86:87], v[10:11], -v[14:15]
	v_add_f64_e32 v[0:1], v[72:73], v[54:55]
	v_add_f64_e32 v[36:37], v[74:75], v[56:57]
	v_add_f64_e64 v[38:39], v[58:59], -v[2:3]
	v_add_f64_e64 v[44:45], v[76:77], -v[82:83]
	;; [unrolled: 1-line block ×10, first 2 shown]
	v_add_f64_e32 v[8:9], v[16:17], v[8:9]
	v_add_f64_e32 v[10:11], v[18:19], v[10:11]
	v_add_f64_e64 v[16:17], v[12:13], -v[16:17]
	v_add_f64_e64 v[18:19], v[14:15], -v[18:19]
	v_add_f64_e32 v[32:33], v[28:29], v[32:33]
	v_add_f64_e32 v[34:35], v[30:31], v[34:35]
	v_add_f64_e64 v[58:59], v[78:79], -v[58:59]
	v_add_f64_e64 v[76:77], v[80:81], -v[76:77]
	;; [unrolled: 1-line block ×4, first 2 shown]
	v_add_f64_e32 v[88:89], v[2:3], v[4:5]
	v_add_f64_e32 v[82:83], v[82:83], v[6:7]
	v_add_f64_e64 v[4:5], v[54:55], -v[40:41]
	v_add_f64_e64 v[6:7], v[56:57], -v[42:43]
	v_mul_f64_e32 v[104:105], s[0:1], v[84:85]
	v_mul_f64_e32 v[106:107], s[0:1], v[86:87]
	v_add_f64_e64 v[54:55], v[72:73], -v[54:55]
	v_add_f64_e64 v[56:57], v[74:75], -v[56:57]
	v_add_f64_e32 v[98:99], v[40:41], v[0:1]
	v_add_f64_e32 v[36:37], v[42:43], v[36:37]
	v_add_f64_e64 v[40:41], v[40:41], -v[72:73]
	v_add_f64_e64 v[42:43], v[42:43], -v[74:75]
	v_mul_f64_e32 v[38:39], s[12:13], v[38:39]
	v_mul_f64_e32 v[44:45], s[12:13], v[44:45]
	;; [unrolled: 1-line block ×10, first 2 shown]
	v_add_f64_e32 v[8:9], v[8:9], v[12:13]
	v_add_f64_e32 v[10:11], v[10:11], v[14:15]
	;; [unrolled: 1-line block ×6, first 2 shown]
	v_mul_f64_e32 v[68:69], s[12:13], v[4:5]
	v_mul_f64_e32 v[70:71], s[12:13], v[6:7]
	v_add_f64_e32 v[4:5], v[64:65], v[98:99]
	v_add_f64_e32 v[6:7], v[66:67], v[36:37]
	v_mul_f64_e32 v[64:65], s[8:9], v[40:41]
	v_mul_f64_e32 v[66:67], s[8:9], v[42:43]
	v_fma_f64 v[20:21], v[46:47], s[8:9], v[38:39]
	v_fma_f64 v[22:23], v[48:49], s[8:9], v[44:45]
	v_fma_f64 v[34:35], v[76:77], s[16:17], -v[80:81]
	v_fma_f64 v[46:47], v[16:17], s[20:21], v[50:51]
	v_fma_f64 v[48:49], v[18:19], s[20:21], v[52:53]
	v_fma_f64 v[32:33], v[58:59], s[16:17], -v[78:79]
	s_wait_alu 0xfffe
	v_fma_f64 v[18:19], v[18:19], s[22:23], -v[106:107]
	v_fma_f64 v[38:39], v[58:59], s[18:19], -v[38:39]
	;; [unrolled: 1-line block ×3, first 2 shown]
	v_fma_f64 v[58:59], v[28:29], s[20:21], v[90:91]
	v_fma_f64 v[76:77], v[30:31], s[20:21], v[92:93]
	v_fma_f64 v[16:17], v[16:17], s[22:23], -v[104:105]
	v_fma_f64 v[78:79], v[94:95], s[0:1], -v[90:91]
	;; [unrolled: 1-line block ×7, first 2 shown]
	v_fma_f64 v[72:73], v[88:89], s[10:11], v[0:1]
	v_fma_f64 v[74:75], v[82:83], s[10:11], v[2:3]
	;; [unrolled: 1-line block ×4, first 2 shown]
	v_fma_f64 v[68:69], v[54:55], s[18:19], -v[68:69]
	v_fma_f64 v[70:71], v[56:57], s[18:19], -v[70:71]
	v_fma_f64 v[82:83], v[98:99], s[10:11], v[4:5]
	v_fma_f64 v[36:37], v[36:37], s[10:11], v[6:7]
	v_fma_f64 v[54:55], v[54:55], s[16:17], -v[64:65]
	v_fma_f64 v[56:57], v[56:57], s[16:17], -v[66:67]
	v_fma_f64 v[46:47], v[8:9], s[24:25], v[46:47]
	v_fma_f64 v[48:49], v[10:11], s[24:25], v[48:49]
	;; [unrolled: 1-line block ×7, first 2 shown]
	v_add_f64_e32 v[84:85], v[20:21], v[72:73]
	v_add_f64_e32 v[86:87], v[22:23], v[74:75]
	;; [unrolled: 1-line block ×4, first 2 shown]
	v_fma_f64 v[72:73], v[14:15], s[24:25], v[76:77]
	v_add_f64_e32 v[44:45], v[44:45], v[74:75]
	v_add_f64_e32 v[22:23], v[34:35], v[74:75]
	v_fma_f64 v[74:75], v[12:13], s[24:25], v[78:79]
	v_add_f64_e32 v[88:89], v[40:41], v[82:83]
	v_add_f64_e32 v[90:91], v[42:43], v[36:37]
	v_fma_f64 v[76:77], v[14:15], s[24:25], v[80:81]
	v_fma_f64 v[78:79], v[12:13], s[24:25], v[28:29]
	v_fma_f64 v[80:81], v[14:15], s[24:25], v[30:31]
	v_add_f64_e32 v[68:69], v[68:69], v[82:83]
	v_add_f64_e32 v[70:71], v[70:71], v[36:37]
	v_add_f64_e32 v[54:55], v[54:55], v[82:83]
	v_add_f64_e32 v[56:57], v[56:57], v[36:37]
	v_add_f64_e32 v[8:9], v[48:49], v[84:85]
	v_add_f64_e64 v[10:11], v[86:87], -v[46:47]
	v_add_f64_e32 v[12:13], v[66:67], v[38:39]
	v_add_f64_e64 v[28:29], v[38:39], -v[66:67]
	v_add_f64_e64 v[16:17], v[20:21], -v[52:53]
	;; [unrolled: 1-line block ×3, first 2 shown]
	v_add_f64_e32 v[18:19], v[50:51], v[22:23]
	v_add_f64_e32 v[30:31], v[64:65], v[44:45]
	;; [unrolled: 1-line block ×3, first 2 shown]
	v_add_f64_e64 v[38:39], v[90:91], -v[58:59]
	v_add_f64_e32 v[34:35], v[46:47], v[86:87]
	v_add_f64_e32 v[20:21], v[52:53], v[20:21]
	v_add_f64_e64 v[22:23], v[22:23], -v[50:51]
	v_add_f64_e32 v[40:41], v[80:81], v[68:69]
	v_add_f64_e64 v[42:43], v[70:71], -v[78:79]
	v_add_f64_e64 v[44:45], v[54:55], -v[76:77]
	v_add_f64_e32 v[46:47], v[74:75], v[56:57]
	v_add_f64_e64 v[32:33], v[84:85], -v[48:49]
	v_add_f64_e32 v[48:49], v[76:77], v[54:55]
	v_add_f64_e64 v[50:51], v[56:57], -v[74:75]
	v_add_f64_e64 v[52:53], v[68:69], -v[80:81]
	v_add_f64_e32 v[54:55], v[78:79], v[70:71]
	v_add_f64_e64 v[56:57], v[88:89], -v[72:73]
	v_add_f64_e32 v[58:59], v[58:59], v[90:91]
	ds_store_b128 v140, v[0:3]
	ds_store_b128 v140, v[4:7] offset:1008
	ds_store_b128 v140, v[8:11] offset:2160
	;; [unrolled: 1-line block ×13, first 2 shown]
	s_and_saveexec_b32 s26, vcc_lo
	s_cbranch_execz .LBB0_9
; %bb.8:
	s_clause 0x4
	scratch_load_b128 v[36:39], off, off offset:624 th:TH_LOAD_LU
	scratch_load_b128 v[40:43], off, off offset:640 th:TH_LOAD_LU
	;; [unrolled: 1-line block ×5, first 2 shown]
	s_wait_loadcnt 0x4
	v_mul_f64_e32 v[0:1], v[38:39], v[24:25]
	s_wait_loadcnt 0x3
	v_mul_f64_e32 v[4:5], v[42:43], v[100:101]
	v_mul_f64_e32 v[14:15], v[42:43], v[102:103]
	scratch_load_b128 v[42:45], off, off offset:656 th:TH_LOAD_LU ; 16-byte Folded Reload
	s_wait_loadcnt 0x3
	v_mul_f64_e32 v[2:3], v[30:31], v[146:147]
	s_wait_loadcnt 0x2
	v_mul_f64_e32 v[6:7], v[34:35], v[142:143]
	v_mul_f64_e32 v[8:9], v[30:31], v[148:149]
	v_mul_f64_e32 v[10:11], v[38:39], v[26:27]
	v_mul_f64_e32 v[12:13], v[34:35], v[144:145]
	s_wait_loadcnt 0x1
	v_mul_f64_e32 v[16:17], v[48:49], v[138:139]
	v_mul_f64_e32 v[22:23], v[48:49], v[136:137]
	v_fma_f64 v[0:1], v[36:37], v[26:27], -v[0:1]
	v_fma_f64 v[4:5], v[40:41], v[102:103], -v[4:5]
	v_fma_f64 v[14:15], v[40:41], v[100:101], v[14:15]
	v_fma_f64 v[2:3], v[28:29], v[148:149], -v[2:3]
	v_fma_f64 v[6:7], v[32:33], v[144:145], -v[6:7]
	v_fma_f64 v[8:9], v[28:29], v[146:147], v[8:9]
	v_fma_f64 v[10:11], v[36:37], v[24:25], v[10:11]
	;; [unrolled: 1-line block ×4, first 2 shown]
	v_fma_f64 v[22:23], v[46:47], v[138:139], -v[22:23]
	v_add_f64_e32 v[24:25], v[2:3], v[0:1]
	v_add_f64_e32 v[26:27], v[6:7], v[4:5]
	v_add_f64_e64 v[4:5], v[6:7], -v[4:5]
	v_add_f64_e32 v[28:29], v[8:9], v[10:11]
	v_add_f64_e32 v[30:31], v[12:13], v[14:15]
	v_add_f64_e64 v[12:13], v[12:13], -v[14:15]
	v_add_f64_e64 v[8:9], v[8:9], -v[10:11]
	;; [unrolled: 1-line block ×3, first 2 shown]
	v_add_f64_e32 v[10:11], v[26:27], v[24:25]
	v_add_f64_e32 v[0:1], v[30:31], v[28:29]
	s_delay_alu instid0(VALU_DEP_4) | instskip(NEXT) | instid1(VALU_DEP_4)
	v_add_f64_e64 v[34:35], v[12:13], -v[8:9]
	v_add_f64_e64 v[38:39], v[4:5], -v[6:7]
	s_delay_alu instid0(VALU_DEP_1) | instskip(SKIP_4) | instid1(VALU_DEP_3)
	v_mul_f64_e32 v[46:47], s[0:1], v[38:39]
	s_wait_loadcnt 0x0
	v_mul_f64_e32 v[18:19], v[44:45], v[130:131]
	v_mul_f64_e32 v[20:21], v[44:45], v[128:129]
	;; [unrolled: 1-line block ×3, first 2 shown]
	v_fma_f64 v[18:19], v[42:43], v[128:129], v[18:19]
	s_delay_alu instid0(VALU_DEP_3) | instskip(NEXT) | instid1(VALU_DEP_2)
	v_fma_f64 v[20:21], v[42:43], v[130:131], -v[20:21]
	v_add_f64_e64 v[32:33], v[16:17], -v[18:19]
	s_delay_alu instid0(VALU_DEP_2) | instskip(SKIP_2) | instid1(VALU_DEP_4)
	v_add_f64_e32 v[14:15], v[20:21], v[22:23]
	v_add_f64_e32 v[16:17], v[18:19], v[16:17]
	v_add_f64_e64 v[18:19], v[22:23], -v[20:21]
	v_add_f64_e64 v[2:3], v[32:33], -v[12:13]
	s_delay_alu instid0(VALU_DEP_4) | instskip(NEXT) | instid1(VALU_DEP_4)
	v_add_f64_e64 v[20:21], v[24:25], -v[14:15]
	v_add_f64_e64 v[22:23], v[28:29], -v[16:17]
	v_add_f64_e32 v[10:11], v[14:15], v[10:11]
	v_add_f64_e64 v[14:15], v[14:15], -v[26:27]
	v_add_f64_e64 v[36:37], v[18:19], -v[4:5]
	v_add_f64_e32 v[40:41], v[16:17], v[0:1]
	v_add_f64_e64 v[16:17], v[16:17], -v[30:31]
	v_add_f64_e64 v[42:43], v[8:9], -v[32:33]
	v_add_f64_e32 v[12:13], v[32:33], v[12:13]
	v_add_f64_e32 v[4:5], v[18:19], v[4:5]
	v_add_f64_e64 v[18:19], v[6:7], -v[18:19]
	v_add_f64_e64 v[24:25], v[26:27], -v[24:25]
	v_add_f64_e64 v[28:29], v[30:31], -v[28:29]
	v_mul_f64_e32 v[32:33], s[14:15], v[2:3]
	v_mul_f64_e32 v[20:21], s[12:13], v[20:21]
	;; [unrolled: 1-line block ×3, first 2 shown]
	v_add_f64_e32 v[2:3], v[62:63], v[10:11]
	v_mul_f64_e32 v[26:27], s[8:9], v[14:15]
	v_mul_f64_e32 v[36:37], s[14:15], v[36:37]
	v_add_f64_e32 v[0:1], v[60:61], v[40:41]
	v_mul_f64_e32 v[30:31], s[8:9], v[16:17]
	v_add_f64_e32 v[8:9], v[12:13], v[8:9]
	v_add_f64_e32 v[4:5], v[4:5], v[6:7]
	v_fma_f64 v[6:7], v[42:43], s[20:21], v[32:33]
	v_fma_f64 v[12:13], v[14:15], s[8:9], v[20:21]
	;; [unrolled: 1-line block ×3, first 2 shown]
	v_fma_f64 v[16:17], v[42:43], s[22:23], -v[44:45]
	v_fma_f64 v[32:33], v[34:35], s[0:1], -v[32:33]
	v_fma_f64 v[10:11], v[10:11], s[10:11], v[2:3]
	v_fma_f64 v[20:21], v[24:25], s[18:19], -v[20:21]
	v_fma_f64 v[24:25], v[24:25], s[16:17], -v[26:27]
	v_fma_f64 v[26:27], v[18:19], s[20:21], v[36:37]
	;; [unrolled: 3-line block ×4, first 2 shown]
	v_fma_f64 v[16:17], v[8:9], s[24:25], v[16:17]
	v_fma_f64 v[8:9], v[8:9], s[24:25], v[32:33]
	v_add_f64_e32 v[12:13], v[12:13], v[10:11]
	v_add_f64_e32 v[20:21], v[20:21], v[10:11]
	;; [unrolled: 1-line block ×3, first 2 shown]
	v_fma_f64 v[32:33], v[4:5], s[24:25], v[26:27]
	v_fma_f64 v[38:39], v[4:5], s[24:25], v[18:19]
	;; [unrolled: 1-line block ×3, first 2 shown]
	v_add_f64_e32 v[34:35], v[14:15], v[36:37]
	v_add_f64_e32 v[40:41], v[22:23], v[36:37]
	;; [unrolled: 1-line block ×3, first 2 shown]
	v_add_f64_e64 v[26:27], v[12:13], -v[30:31]
	v_add_f64_e32 v[10:11], v[16:17], v[20:21]
	v_add_f64_e64 v[14:15], v[24:25], -v[8:9]
	v_add_f64_e32 v[18:19], v[8:9], v[24:25]
	;; [unrolled: 2-line block ×3, first 2 shown]
	v_add_f64_e32 v[24:25], v[32:33], v[34:35]
	v_add_f64_e32 v[20:21], v[38:39], v[40:41]
	v_add_f64_e64 v[16:17], v[28:29], -v[4:5]
	v_add_f64_e32 v[12:13], v[4:5], v[28:29]
	v_add_f64_e64 v[8:9], v[40:41], -v[38:39]
	v_add_f64_e64 v[4:5], v[34:35], -v[32:33]
	ds_store_b128 v140, v[0:3] offset:2016
	ds_store_b128 v140, v[24:27] offset:4176
	;; [unrolled: 1-line block ×7, first 2 shown]
.LBB0_9:
	s_wait_alu 0xfffe
	s_or_b32 exec_lo, exec_lo, s26
	global_wb scope:SCOPE_SE
	s_wait_dscnt 0x0
	s_barrier_signal -1
	s_barrier_wait -1
	global_inv scope:SCOPE_SE
	ds_load_b128 v[0:3], v140
	ds_load_b128 v[4:7], v140 offset:5040
	ds_load_b128 v[8:11], v140 offset:10080
	;; [unrolled: 1-line block ×3, first 2 shown]
	scratch_load_b64 v[16:17], off, off th:TH_LOAD_LU ; 8-byte Folded Reload
	v_mad_co_u64_u32 v[78:79], null, s4, v120, 0
	s_mov_b32 s8, 0xbc011567
	s_mov_b32 s9, 0x3f51566a
	s_mul_u64 s[0:1], s[4:5], 0x13b0
	s_movk_i32 s10, 0xdc90
	s_mov_b32 s11, -1
	s_wait_alu 0xfffe
	s_mul_u64 s[10:11], s[4:5], s[10:11]
	s_wait_loadcnt 0x0
	v_mov_b32_e32 v80, v16
	ds_load_b128 v[16:19], v140 offset:11088
	ds_load_b128 v[20:23], v140 offset:4032
	scratch_load_b128 v[94:97], off, off offset:12 th:TH_LOAD_LU ; 16-byte Folded Reload
	ds_load_b128 v[24:27], v140 offset:6048
	ds_load_b128 v[28:31], v140 offset:2016
	v_mad_co_u64_u32 v[60:61], null, s6, v80, 0
	s_wait_loadcnt_dscnt 0x7
	v_mul_f64_e32 v[62:63], v[96:97], v[2:3]
	v_mul_f64_e32 v[64:65], v[96:97], v[0:1]
	scratch_load_b128 v[96:99], off, off offset:28 th:TH_LOAD_LU ; 16-byte Folded Reload
	v_mad_co_u64_u32 v[80:81], null, s7, v80, v[61:62]
	v_fma_f64 v[0:1], v[94:95], v[0:1], v[62:63]
	v_fma_f64 v[2:3], v[94:95], v[2:3], -v[64:65]
	s_delay_alu instid0(VALU_DEP_3) | instskip(SKIP_1) | instid1(VALU_DEP_1)
	v_mad_co_u64_u32 v[81:82], null, s5, v120, v[79:80]
	v_mov_b32_e32 v61, v80
	v_lshlrev_b64_e32 v[60:61], 4, v[60:61]
	s_delay_alu instid0(VALU_DEP_3) | instskip(NEXT) | instid1(VALU_DEP_2)
	v_mov_b32_e32 v79, v81
	v_add_co_u32 v106, vcc_lo, s2, v60
	s_wait_alu 0xfffd
	s_delay_alu instid0(VALU_DEP_3) | instskip(NEXT) | instid1(VALU_DEP_3)
	v_add_co_ci_u32_e32 v107, vcc_lo, s3, v61, vcc_lo
	v_lshlrev_b64_e32 v[78:79], 4, v[78:79]
	s_delay_alu instid0(VALU_DEP_1) | instskip(SKIP_1) | instid1(VALU_DEP_2)
	v_add_co_u32 v78, vcc_lo, v106, v78
	s_wait_alu 0xfffd
	v_add_co_ci_u32_e32 v79, vcc_lo, v107, v79, vcc_lo
	v_mul_f64_e32 v[0:1], s[8:9], v[0:1]
	v_mul_f64_e32 v[2:3], s[8:9], v[2:3]
	s_wait_loadcnt_dscnt 0x6
	v_mul_f64_e32 v[66:67], v[98:99], v[6:7]
	v_mul_f64_e32 v[68:69], v[98:99], v[4:5]
	scratch_load_b128 v[98:101], off, off offset:60 th:TH_LOAD_LU ; 16-byte Folded Reload
	v_fma_f64 v[4:5], v[96:97], v[4:5], v[66:67]
	v_fma_f64 v[6:7], v[96:97], v[6:7], -v[68:69]
	s_delay_alu instid0(VALU_DEP_2) | instskip(NEXT) | instid1(VALU_DEP_2)
	v_mul_f64_e32 v[4:5], s[8:9], v[4:5]
	v_mul_f64_e32 v[6:7], s[8:9], v[6:7]
	s_wait_loadcnt_dscnt 0x5
	v_mul_f64_e32 v[70:71], v[100:101], v[10:11]
	v_mul_f64_e32 v[72:73], v[100:101], v[8:9]
	scratch_load_b128 v[100:103], off, off offset:76 th:TH_LOAD_LU ; 16-byte Folded Reload
	ds_load_b128 v[32:35], v140 offset:7056
	ds_load_b128 v[36:39], v140 offset:3024
	;; [unrolled: 1-line block ×7, first 2 shown]
	s_clause 0x3
	scratch_load_b128 v[108:111], off, off offset:44 th:TH_LOAD_LU
	scratch_load_b128 v[114:117], off, off offset:108 th:TH_LOAD_LU
	;; [unrolled: 1-line block ×4, first 2 shown]
	v_fma_f64 v[8:9], v[98:99], v[8:9], v[70:71]
	v_fma_f64 v[10:11], v[98:99], v[10:11], -v[72:73]
	s_delay_alu instid0(VALU_DEP_2) | instskip(NEXT) | instid1(VALU_DEP_2)
	v_mul_f64_e32 v[8:9], s[8:9], v[8:9]
	v_mul_f64_e32 v[10:11], s[8:9], v[10:11]
	s_wait_loadcnt_dscnt 0x40b
	v_mul_f64_e32 v[74:75], v[102:103], v[14:15]
	v_mul_f64_e32 v[76:77], v[102:103], v[12:13]
	s_wait_loadcnt_dscnt 0x308
	v_mul_f64_e32 v[82:83], v[110:111], v[26:27]
	s_wait_loadcnt 0x2
	v_mul_f64_e32 v[86:87], v[116:117], v[18:19]
	v_mul_f64_e32 v[88:89], v[116:117], v[16:17]
	scratch_load_b128 v[116:119], off, off offset:124 th:TH_LOAD_LU ; 16-byte Folded Reload
	v_mul_f64_e32 v[84:85], v[110:111], v[24:25]
	scratch_load_b128 v[110:113], off, off offset:92 th:TH_LOAD_LU ; 16-byte Folded Reload
	v_fma_f64 v[12:13], v[100:101], v[12:13], v[74:75]
	v_fma_f64 v[14:15], v[100:101], v[14:15], -v[76:77]
	v_fma_f64 v[24:25], v[108:109], v[24:25], v[82:83]
	v_add_co_u32 v82, vcc_lo, v78, s0
	s_wait_alu 0xfffd
	v_add_co_ci_u32_e32 v83, vcc_lo, s1, v79, vcc_lo
	v_fma_f64 v[26:27], v[108:109], v[26:27], -v[84:85]
	v_fma_f64 v[84:85], v[114:115], v[16:17], v[86:87]
	v_fma_f64 v[86:87], v[114:115], v[18:19], -v[88:89]
	v_add_co_u32 v88, vcc_lo, v82, s0
	s_wait_alu 0xfffd
	v_add_co_ci_u32_e32 v89, vcc_lo, s1, v83, vcc_lo
	v_mul_f64_e32 v[12:13], s[8:9], v[12:13]
	v_mul_f64_e32 v[14:15], s[8:9], v[14:15]
	;; [unrolled: 1-line block ×4, first 2 shown]
	s_wait_loadcnt_dscnt 0x106
	v_mul_f64_e32 v[62:63], v[118:119], v[34:35]
	v_mul_f64_e32 v[64:65], v[118:119], v[32:33]
	scratch_load_b128 v[118:121], off, off offset:140 th:TH_LOAD_LU ; 16-byte Folded Reload
	v_mul_f64_e32 v[90:91], v[124:125], v[30:31]
	v_mul_f64_e32 v[92:93], v[124:125], v[28:29]
	scratch_load_b128 v[124:127], off, off offset:172 th:TH_LOAD_LU ; 16-byte Folded Reload
	s_wait_dscnt 0x4
	v_mul_f64_e32 v[66:67], v[130:131], v[42:43]
	v_mul_f64_e32 v[68:69], v[130:131], v[40:41]
	scratch_load_b128 v[130:133], off, off offset:204 th:TH_LOAD_LU ; 16-byte Folded Reload
	s_wait_loadcnt 0x3
	v_mul_f64_e32 v[98:99], v[112:113], v[22:23]
	v_mul_f64_e32 v[100:101], v[112:113], v[20:21]
	v_fma_f64 v[32:33], v[116:117], v[32:33], v[62:63]
	v_fma_f64 v[34:35], v[116:117], v[34:35], -v[64:65]
	v_fma_f64 v[28:29], v[122:123], v[28:29], v[90:91]
	v_fma_f64 v[30:31], v[122:123], v[30:31], -v[92:93]
	s_wait_alu 0xfffe
	v_add_co_u32 v90, vcc_lo, v88, s10
	v_fma_f64 v[40:41], v[128:129], v[40:41], v[66:67]
	v_fma_f64 v[42:43], v[128:129], v[42:43], -v[68:69]
	v_fma_f64 v[62:63], v[110:111], v[20:21], v[98:99]
	v_fma_f64 v[64:65], v[110:111], v[22:23], -v[100:101]
	s_wait_alu 0xfffd
	v_add_co_ci_u32_e32 v91, vcc_lo, s11, v89, vcc_lo
	s_wait_loadcnt 0x2
	v_mul_f64_e32 v[70:71], v[120:121], v[38:39]
	v_mul_f64_e32 v[72:73], v[120:121], v[36:37]
	s_wait_loadcnt_dscnt 0x103
	v_mul_f64_e32 v[94:95], v[126:127], v[46:47]
	v_mul_f64_e32 v[96:97], v[126:127], v[44:45]
	s_wait_loadcnt_dscnt 0x2
	v_mul_f64_e32 v[74:75], v[132:133], v[50:51]
	v_mul_f64_e32 v[76:77], v[132:133], v[48:49]
	scratch_load_b128 v[132:135], off, off offset:220 th:TH_LOAD_LU ; 16-byte Folded Reload
	v_fma_f64 v[36:37], v[118:119], v[36:37], v[70:71]
	v_fma_f64 v[38:39], v[118:119], v[38:39], -v[72:73]
	v_fma_f64 v[44:45], v[124:125], v[44:45], v[94:95]
	v_fma_f64 v[46:47], v[124:125], v[46:47], -v[96:97]
	;; [unrolled: 2-line block ×3, first 2 shown]
	v_mul_f64_e32 v[20:21], s[8:9], v[36:37]
	v_mul_f64_e32 v[22:23], s[8:9], v[38:39]
	s_delay_alu instid0(VALU_DEP_4) | instskip(NEXT) | instid1(VALU_DEP_4)
	v_mul_f64_e32 v[24:25], s[8:9], v[48:49]
	v_mul_f64_e32 v[26:27], s[8:9], v[50:51]
	s_wait_loadcnt_dscnt 0x1
	v_mul_f64_e32 v[80:81], v[134:135], v[54:55]
	v_mul_f64_e32 v[102:103], v[134:135], v[52:53]
	scratch_load_b128 v[134:137], off, off offset:236 th:TH_LOAD_LU ; 16-byte Folded Reload
	s_clause 0x3
	global_store_b128 v[78:79], v[0:3], off
	global_store_b128 v[82:83], v[4:7], off
	;; [unrolled: 1-line block ×4, first 2 shown]
	v_mul_f64_e32 v[0:1], s[8:9], v[84:85]
	v_mul_f64_e32 v[2:3], s[8:9], v[86:87]
	;; [unrolled: 1-line block ×12, first 2 shown]
	v_fma_f64 v[52:53], v[132:133], v[52:53], v[80:81]
	v_fma_f64 v[54:55], v[132:133], v[54:55], -v[102:103]
	s_delay_alu instid0(VALU_DEP_2) | instskip(NEXT) | instid1(VALU_DEP_2)
	v_mul_f64_e32 v[36:37], s[8:9], v[52:53]
	v_mul_f64_e32 v[38:39], s[8:9], v[54:55]
	s_wait_loadcnt_dscnt 0x0
	v_mul_f64_e32 v[104:105], v[136:137], v[58:59]
	v_mul_f64_e32 v[60:61], v[136:137], v[56:57]
	s_delay_alu instid0(VALU_DEP_2) | instskip(NEXT) | instid1(VALU_DEP_2)
	v_fma_f64 v[56:57], v[134:135], v[56:57], v[104:105]
	v_fma_f64 v[58:59], v[134:135], v[58:59], -v[60:61]
	v_add_co_u32 v60, vcc_lo, v90, s0
	s_wait_alu 0xfffd
	v_add_co_ci_u32_e32 v61, vcc_lo, s1, v91, vcc_lo
	s_delay_alu instid0(VALU_DEP_2) | instskip(SKIP_1) | instid1(VALU_DEP_2)
	v_add_co_u32 v66, vcc_lo, v60, s0
	s_wait_alu 0xfffd
	v_add_co_ci_u32_e32 v67, vcc_lo, s1, v61, vcc_lo
	global_store_b128 v[60:61], v[16:19], off
	v_add_co_u32 v68, vcc_lo, v66, s10
	s_wait_alu 0xfffd
	v_add_co_ci_u32_e32 v69, vcc_lo, s11, v67, vcc_lo
	global_store_b128 v[66:67], v[0:3], off
	;; [unrolled: 4-line block ×6, first 2 shown]
	v_add_co_u32 v2, vcc_lo, v0, s0
	v_mul_f64_e32 v[40:41], s[8:9], v[56:57]
	v_mul_f64_e32 v[42:43], s[8:9], v[58:59]
	s_wait_alu 0xfffd
	v_add_co_ci_u32_e32 v3, vcc_lo, s1, v1, vcc_lo
	v_add_co_u32 v4, vcc_lo, v2, s10
	s_wait_alu 0xfffd
	s_delay_alu instid0(VALU_DEP_2) | instskip(NEXT) | instid1(VALU_DEP_2)
	v_add_co_ci_u32_e32 v5, vcc_lo, s11, v3, vcc_lo
	v_add_co_u32 v6, vcc_lo, v4, s0
	s_wait_alu 0xfffd
	s_delay_alu instid0(VALU_DEP_2) | instskip(NEXT) | instid1(VALU_DEP_2)
	v_add_co_ci_u32_e32 v7, vcc_lo, s1, v5, vcc_lo
	v_add_co_u32 v8, vcc_lo, v6, s0
	s_wait_alu 0xfffd
	s_delay_alu instid0(VALU_DEP_2)
	v_add_co_ci_u32_e32 v9, vcc_lo, s1, v7, vcc_lo
	global_store_b128 v[0:1], v[24:27], off
	global_store_b128 v[2:3], v[28:31], off
	;; [unrolled: 1-line block ×5, first 2 shown]
.LBB0_10:
	s_nop 0
	s_sendmsg sendmsg(MSG_DEALLOC_VGPRS)
	s_endpgm
	.section	.rodata,"a",@progbits
	.p2align	6, 0x0
	.amdhsa_kernel bluestein_single_back_len945_dim1_dp_op_CI_CI
		.amdhsa_group_segment_fixed_size 15120
		.amdhsa_private_segment_fixed_size 692
		.amdhsa_kernarg_size 104
		.amdhsa_user_sgpr_count 2
		.amdhsa_user_sgpr_dispatch_ptr 0
		.amdhsa_user_sgpr_queue_ptr 0
		.amdhsa_user_sgpr_kernarg_segment_ptr 1
		.amdhsa_user_sgpr_dispatch_id 0
		.amdhsa_user_sgpr_private_segment_size 0
		.amdhsa_wavefront_size32 1
		.amdhsa_uses_dynamic_stack 0
		.amdhsa_enable_private_segment 1
		.amdhsa_system_sgpr_workgroup_id_x 1
		.amdhsa_system_sgpr_workgroup_id_y 0
		.amdhsa_system_sgpr_workgroup_id_z 0
		.amdhsa_system_sgpr_workgroup_info 0
		.amdhsa_system_vgpr_workitem_id 0
		.amdhsa_next_free_vgpr 256
		.amdhsa_next_free_sgpr 28
		.amdhsa_reserve_vcc 1
		.amdhsa_float_round_mode_32 0
		.amdhsa_float_round_mode_16_64 0
		.amdhsa_float_denorm_mode_32 3
		.amdhsa_float_denorm_mode_16_64 3
		.amdhsa_fp16_overflow 0
		.amdhsa_workgroup_processor_mode 1
		.amdhsa_memory_ordered 1
		.amdhsa_forward_progress 0
		.amdhsa_round_robin_scheduling 0
		.amdhsa_exception_fp_ieee_invalid_op 0
		.amdhsa_exception_fp_denorm_src 0
		.amdhsa_exception_fp_ieee_div_zero 0
		.amdhsa_exception_fp_ieee_overflow 0
		.amdhsa_exception_fp_ieee_underflow 0
		.amdhsa_exception_fp_ieee_inexact 0
		.amdhsa_exception_int_div_zero 0
	.end_amdhsa_kernel
	.text
.Lfunc_end0:
	.size	bluestein_single_back_len945_dim1_dp_op_CI_CI, .Lfunc_end0-bluestein_single_back_len945_dim1_dp_op_CI_CI
                                        ; -- End function
	.section	.AMDGPU.csdata,"",@progbits
; Kernel info:
; codeLenInByte = 22588
; NumSgprs: 30
; NumVgprs: 256
; ScratchSize: 692
; MemoryBound: 0
; FloatMode: 240
; IeeeMode: 1
; LDSByteSize: 15120 bytes/workgroup (compile time only)
; SGPRBlocks: 3
; VGPRBlocks: 31
; NumSGPRsForWavesPerEU: 30
; NumVGPRsForWavesPerEU: 256
; Occupancy: 4
; WaveLimiterHint : 1
; COMPUTE_PGM_RSRC2:SCRATCH_EN: 1
; COMPUTE_PGM_RSRC2:USER_SGPR: 2
; COMPUTE_PGM_RSRC2:TRAP_HANDLER: 0
; COMPUTE_PGM_RSRC2:TGID_X_EN: 1
; COMPUTE_PGM_RSRC2:TGID_Y_EN: 0
; COMPUTE_PGM_RSRC2:TGID_Z_EN: 0
; COMPUTE_PGM_RSRC2:TIDIG_COMP_CNT: 0
	.text
	.p2alignl 7, 3214868480
	.fill 96, 4, 3214868480
	.type	__hip_cuid_e7b599a050ac2a6d,@object ; @__hip_cuid_e7b599a050ac2a6d
	.section	.bss,"aw",@nobits
	.globl	__hip_cuid_e7b599a050ac2a6d
__hip_cuid_e7b599a050ac2a6d:
	.byte	0                               ; 0x0
	.size	__hip_cuid_e7b599a050ac2a6d, 1

	.ident	"AMD clang version 19.0.0git (https://github.com/RadeonOpenCompute/llvm-project roc-6.4.0 25133 c7fe45cf4b819c5991fe208aaa96edf142730f1d)"
	.section	".note.GNU-stack","",@progbits
	.addrsig
	.addrsig_sym __hip_cuid_e7b599a050ac2a6d
	.amdgpu_metadata
---
amdhsa.kernels:
  - .args:
      - .actual_access:  read_only
        .address_space:  global
        .offset:         0
        .size:           8
        .value_kind:     global_buffer
      - .actual_access:  read_only
        .address_space:  global
        .offset:         8
        .size:           8
        .value_kind:     global_buffer
      - .actual_access:  read_only
        .address_space:  global
        .offset:         16
        .size:           8
        .value_kind:     global_buffer
      - .actual_access:  read_only
        .address_space:  global
        .offset:         24
        .size:           8
        .value_kind:     global_buffer
      - .actual_access:  read_only
        .address_space:  global
        .offset:         32
        .size:           8
        .value_kind:     global_buffer
      - .offset:         40
        .size:           8
        .value_kind:     by_value
      - .address_space:  global
        .offset:         48
        .size:           8
        .value_kind:     global_buffer
      - .address_space:  global
        .offset:         56
        .size:           8
        .value_kind:     global_buffer
      - .address_space:  global
        .offset:         64
        .size:           8
        .value_kind:     global_buffer
      - .address_space:  global
        .offset:         72
        .size:           8
        .value_kind:     global_buffer
      - .offset:         80
        .size:           4
        .value_kind:     by_value
      - .address_space:  global
        .offset:         88
        .size:           8
        .value_kind:     global_buffer
      - .address_space:  global
        .offset:         96
        .size:           8
        .value_kind:     global_buffer
    .group_segment_fixed_size: 15120
    .kernarg_segment_align: 8
    .kernarg_segment_size: 104
    .language:       OpenCL C
    .language_version:
      - 2
      - 0
    .max_flat_workgroup_size: 63
    .name:           bluestein_single_back_len945_dim1_dp_op_CI_CI
    .private_segment_fixed_size: 692
    .sgpr_count:     30
    .sgpr_spill_count: 0
    .symbol:         bluestein_single_back_len945_dim1_dp_op_CI_CI.kd
    .uniform_work_group_size: 1
    .uses_dynamic_stack: false
    .vgpr_count:     256
    .vgpr_spill_count: 172
    .wavefront_size: 32
    .workgroup_processor_mode: 1
amdhsa.target:   amdgcn-amd-amdhsa--gfx1201
amdhsa.version:
  - 1
  - 2
...

	.end_amdgpu_metadata
